;; amdgpu-corpus repo=ROCm/rocFFT kind=compiled arch=gfx906 opt=O3
	.text
	.amdgcn_target "amdgcn-amd-amdhsa--gfx906"
	.amdhsa_code_object_version 6
	.protected	fft_rtc_fwd_len1400_factors_2_2_2_5_7_5_wgs_56_tpt_56_halfLds_half_ip_CI_sbrr_dirReg ; -- Begin function fft_rtc_fwd_len1400_factors_2_2_2_5_7_5_wgs_56_tpt_56_halfLds_half_ip_CI_sbrr_dirReg
	.globl	fft_rtc_fwd_len1400_factors_2_2_2_5_7_5_wgs_56_tpt_56_halfLds_half_ip_CI_sbrr_dirReg
	.p2align	8
	.type	fft_rtc_fwd_len1400_factors_2_2_2_5_7_5_wgs_56_tpt_56_halfLds_half_ip_CI_sbrr_dirReg,@function
fft_rtc_fwd_len1400_factors_2_2_2_5_7_5_wgs_56_tpt_56_halfLds_half_ip_CI_sbrr_dirReg: ; @fft_rtc_fwd_len1400_factors_2_2_2_5_7_5_wgs_56_tpt_56_halfLds_half_ip_CI_sbrr_dirReg
; %bb.0:
	s_load_dwordx2 s[2:3], s[4:5], 0x18
	s_load_dwordx4 s[8:11], s[4:5], 0x0
	s_load_dwordx2 s[14:15], s[4:5], 0x50
	v_mul_u32_u24_e32 v1, 0x493, v0
	v_add_u32_sdwa v5, s6, v1 dst_sel:DWORD dst_unused:UNUSED_PAD src0_sel:DWORD src1_sel:WORD_1
	s_waitcnt lgkmcnt(0)
	s_load_dwordx2 s[12:13], s[2:3], 0x0
	v_cmp_lt_u64_e64 s[0:1], s[10:11], 2
	v_mov_b32_e32 v3, 0
	v_mov_b32_e32 v1, 0
	;; [unrolled: 1-line block ×3, first 2 shown]
	s_and_b64 vcc, exec, s[0:1]
	v_mov_b32_e32 v2, 0
	s_cbranch_vccnz .LBB0_8
; %bb.1:
	s_load_dwordx2 s[0:1], s[4:5], 0x10
	s_add_u32 s6, s2, 8
	s_addc_u32 s7, s3, 0
	v_mov_b32_e32 v1, 0
	v_mov_b32_e32 v2, 0
	s_waitcnt lgkmcnt(0)
	s_add_u32 s16, s0, 8
	s_addc_u32 s17, s1, 0
	s_mov_b64 s[18:19], 1
.LBB0_2:                                ; =>This Inner Loop Header: Depth=1
	s_load_dwordx2 s[20:21], s[16:17], 0x0
                                        ; implicit-def: $vgpr7_vgpr8
	s_waitcnt lgkmcnt(0)
	v_or_b32_e32 v4, s21, v6
	v_cmp_ne_u64_e32 vcc, 0, v[3:4]
	s_and_saveexec_b64 s[0:1], vcc
	s_xor_b64 s[22:23], exec, s[0:1]
	s_cbranch_execz .LBB0_4
; %bb.3:                                ;   in Loop: Header=BB0_2 Depth=1
	v_cvt_f32_u32_e32 v4, s20
	v_cvt_f32_u32_e32 v7, s21
	s_sub_u32 s0, 0, s20
	s_subb_u32 s1, 0, s21
	v_mac_f32_e32 v4, 0x4f800000, v7
	v_rcp_f32_e32 v4, v4
	v_mul_f32_e32 v4, 0x5f7ffffc, v4
	v_mul_f32_e32 v7, 0x2f800000, v4
	v_trunc_f32_e32 v7, v7
	v_mac_f32_e32 v4, 0xcf800000, v7
	v_cvt_u32_f32_e32 v7, v7
	v_cvt_u32_f32_e32 v4, v4
	v_mul_lo_u32 v8, s0, v7
	v_mul_hi_u32 v9, s0, v4
	v_mul_lo_u32 v11, s1, v4
	v_mul_lo_u32 v10, s0, v4
	v_add_u32_e32 v8, v9, v8
	v_add_u32_e32 v8, v8, v11
	v_mul_hi_u32 v9, v4, v10
	v_mul_lo_u32 v11, v4, v8
	v_mul_hi_u32 v13, v4, v8
	v_mul_hi_u32 v12, v7, v10
	v_mul_lo_u32 v10, v7, v10
	v_mul_hi_u32 v14, v7, v8
	v_add_co_u32_e32 v9, vcc, v9, v11
	v_addc_co_u32_e32 v11, vcc, 0, v13, vcc
	v_mul_lo_u32 v8, v7, v8
	v_add_co_u32_e32 v9, vcc, v9, v10
	v_addc_co_u32_e32 v9, vcc, v11, v12, vcc
	v_addc_co_u32_e32 v10, vcc, 0, v14, vcc
	v_add_co_u32_e32 v8, vcc, v9, v8
	v_addc_co_u32_e32 v9, vcc, 0, v10, vcc
	v_add_co_u32_e32 v4, vcc, v4, v8
	v_addc_co_u32_e32 v7, vcc, v7, v9, vcc
	v_mul_lo_u32 v8, s0, v7
	v_mul_hi_u32 v9, s0, v4
	v_mul_lo_u32 v10, s1, v4
	v_mul_lo_u32 v11, s0, v4
	v_add_u32_e32 v8, v9, v8
	v_add_u32_e32 v8, v8, v10
	v_mul_lo_u32 v12, v4, v8
	v_mul_hi_u32 v13, v4, v11
	v_mul_hi_u32 v14, v4, v8
	;; [unrolled: 1-line block ×3, first 2 shown]
	v_mul_lo_u32 v11, v7, v11
	v_mul_hi_u32 v9, v7, v8
	v_add_co_u32_e32 v12, vcc, v13, v12
	v_addc_co_u32_e32 v13, vcc, 0, v14, vcc
	v_mul_lo_u32 v8, v7, v8
	v_add_co_u32_e32 v11, vcc, v12, v11
	v_addc_co_u32_e32 v10, vcc, v13, v10, vcc
	v_addc_co_u32_e32 v9, vcc, 0, v9, vcc
	v_add_co_u32_e32 v8, vcc, v10, v8
	v_addc_co_u32_e32 v9, vcc, 0, v9, vcc
	v_add_co_u32_e32 v4, vcc, v4, v8
	v_addc_co_u32_e32 v9, vcc, v7, v9, vcc
	v_mad_u64_u32 v[7:8], s[0:1], v5, v9, 0
	v_mul_hi_u32 v10, v5, v4
	v_add_co_u32_e32 v11, vcc, v10, v7
	v_addc_co_u32_e32 v12, vcc, 0, v8, vcc
	v_mad_u64_u32 v[7:8], s[0:1], v6, v4, 0
	v_mad_u64_u32 v[9:10], s[0:1], v6, v9, 0
	v_add_co_u32_e32 v4, vcc, v11, v7
	v_addc_co_u32_e32 v4, vcc, v12, v8, vcc
	v_addc_co_u32_e32 v7, vcc, 0, v10, vcc
	v_add_co_u32_e32 v4, vcc, v4, v9
	v_addc_co_u32_e32 v9, vcc, 0, v7, vcc
	v_mul_lo_u32 v10, s21, v4
	v_mul_lo_u32 v11, s20, v9
	v_mad_u64_u32 v[7:8], s[0:1], s20, v4, 0
	v_add3_u32 v8, v8, v11, v10
	v_sub_u32_e32 v10, v6, v8
	v_mov_b32_e32 v11, s21
	v_sub_co_u32_e32 v7, vcc, v5, v7
	v_subb_co_u32_e64 v10, s[0:1], v10, v11, vcc
	v_subrev_co_u32_e64 v11, s[0:1], s20, v7
	v_subbrev_co_u32_e64 v10, s[0:1], 0, v10, s[0:1]
	v_cmp_le_u32_e64 s[0:1], s21, v10
	v_cndmask_b32_e64 v12, 0, -1, s[0:1]
	v_cmp_le_u32_e64 s[0:1], s20, v11
	v_cndmask_b32_e64 v11, 0, -1, s[0:1]
	v_cmp_eq_u32_e64 s[0:1], s21, v10
	v_cndmask_b32_e64 v10, v12, v11, s[0:1]
	v_add_co_u32_e64 v11, s[0:1], 2, v4
	v_addc_co_u32_e64 v12, s[0:1], 0, v9, s[0:1]
	v_add_co_u32_e64 v13, s[0:1], 1, v4
	v_addc_co_u32_e64 v14, s[0:1], 0, v9, s[0:1]
	v_subb_co_u32_e32 v8, vcc, v6, v8, vcc
	v_cmp_ne_u32_e64 s[0:1], 0, v10
	v_cmp_le_u32_e32 vcc, s21, v8
	v_cndmask_b32_e64 v10, v14, v12, s[0:1]
	v_cndmask_b32_e64 v12, 0, -1, vcc
	v_cmp_le_u32_e32 vcc, s20, v7
	v_cndmask_b32_e64 v7, 0, -1, vcc
	v_cmp_eq_u32_e32 vcc, s21, v8
	v_cndmask_b32_e32 v7, v12, v7, vcc
	v_cmp_ne_u32_e32 vcc, 0, v7
	v_cndmask_b32_e64 v7, v13, v11, s[0:1]
	v_cndmask_b32_e32 v8, v9, v10, vcc
	v_cndmask_b32_e32 v7, v4, v7, vcc
.LBB0_4:                                ;   in Loop: Header=BB0_2 Depth=1
	s_andn2_saveexec_b64 s[0:1], s[22:23]
	s_cbranch_execz .LBB0_6
; %bb.5:                                ;   in Loop: Header=BB0_2 Depth=1
	v_cvt_f32_u32_e32 v4, s20
	s_sub_i32 s22, 0, s20
	v_rcp_iflag_f32_e32 v4, v4
	v_mul_f32_e32 v4, 0x4f7ffffe, v4
	v_cvt_u32_f32_e32 v4, v4
	v_mul_lo_u32 v7, s22, v4
	v_mul_hi_u32 v7, v4, v7
	v_add_u32_e32 v4, v4, v7
	v_mul_hi_u32 v4, v5, v4
	v_mul_lo_u32 v7, v4, s20
	v_add_u32_e32 v8, 1, v4
	v_sub_u32_e32 v7, v5, v7
	v_subrev_u32_e32 v9, s20, v7
	v_cmp_le_u32_e32 vcc, s20, v7
	v_cndmask_b32_e32 v7, v7, v9, vcc
	v_cndmask_b32_e32 v4, v4, v8, vcc
	v_add_u32_e32 v8, 1, v4
	v_cmp_le_u32_e32 vcc, s20, v7
	v_cndmask_b32_e32 v7, v4, v8, vcc
	v_mov_b32_e32 v8, v3
.LBB0_6:                                ;   in Loop: Header=BB0_2 Depth=1
	s_or_b64 exec, exec, s[0:1]
	v_mul_lo_u32 v4, v8, s20
	v_mul_lo_u32 v11, v7, s21
	v_mad_u64_u32 v[9:10], s[0:1], v7, s20, 0
	s_load_dwordx2 s[0:1], s[6:7], 0x0
	s_add_u32 s18, s18, 1
	v_add3_u32 v4, v10, v11, v4
	v_sub_co_u32_e32 v5, vcc, v5, v9
	v_subb_co_u32_e32 v4, vcc, v6, v4, vcc
	s_waitcnt lgkmcnt(0)
	v_mul_lo_u32 v4, s0, v4
	v_mul_lo_u32 v6, s1, v5
	v_mad_u64_u32 v[1:2], s[0:1], s0, v5, v[1:2]
	s_addc_u32 s19, s19, 0
	s_add_u32 s6, s6, 8
	v_add3_u32 v2, v6, v2, v4
	v_mov_b32_e32 v4, s10
	v_mov_b32_e32 v5, s11
	s_addc_u32 s7, s7, 0
	v_cmp_ge_u64_e32 vcc, s[18:19], v[4:5]
	s_add_u32 s16, s16, 8
	s_addc_u32 s17, s17, 0
	s_cbranch_vccnz .LBB0_9
; %bb.7:                                ;   in Loop: Header=BB0_2 Depth=1
	v_mov_b32_e32 v5, v7
	v_mov_b32_e32 v6, v8
	s_branch .LBB0_2
.LBB0_8:
	v_mov_b32_e32 v8, v6
	v_mov_b32_e32 v7, v5
.LBB0_9:
	s_lshl_b64 s[0:1], s[10:11], 3
	s_add_u32 s0, s2, s0
	s_addc_u32 s1, s3, s1
	s_load_dwordx2 s[2:3], s[0:1], 0x0
	s_load_dwordx2 s[6:7], s[4:5], 0x20
                                        ; implicit-def: $sgpr4
                                        ; implicit-def: $vgpr9
                                        ; implicit-def: $vgpr6
                                        ; implicit-def: $vgpr10
                                        ; implicit-def: $vgpr11
                                        ; implicit-def: $vgpr18
                                        ; implicit-def: $vgpr23
                                        ; implicit-def: $vgpr25
                                        ; implicit-def: $vgpr26
	s_waitcnt lgkmcnt(0)
	v_mad_u64_u32 v[1:2], s[0:1], s2, v7, v[1:2]
	s_mov_b32 s0, 0x4924925
	v_mul_lo_u32 v3, s2, v8
	v_mul_lo_u32 v4, s3, v7
	v_mul_hi_u32 v5, v0, s0
	v_cmp_gt_u64_e32 vcc, s[6:7], v[7:8]
	v_cmp_le_u64_e64 s[0:1], s[6:7], v[7:8]
	v_add3_u32 v2, v4, v2, v3
	v_mul_u32_u24_e32 v3, 56, v5
	v_sub_u32_e32 v4, v0, v3
	v_add_u32_e32 v5, 56, v4
                                        ; implicit-def: $vgpr7
                                        ; implicit-def: $vgpr3
                                        ; implicit-def: $vgpr8
	s_and_saveexec_b64 s[2:3], s[0:1]
	s_xor_b64 s[0:1], exec, s[2:3]
	s_cbranch_execz .LBB0_11
; %bb.10:
	v_add_u32_e32 v9, 56, v4
	v_add_u32_e32 v6, 0x70, v4
	;; [unrolled: 1-line block ×7, first 2 shown]
	v_or_b32_e32 v18, 0x1c0, v4
	v_add_u32_e32 v23, 0x1f8, v4
	v_add_u32_e32 v25, 0x230, v4
	v_add_u32_e32 v26, 0x268, v4
	s_mov_b32 s4, 0
.LBB0_11:
	s_or_saveexec_b64 s[2:3], s[0:1]
	v_lshlrev_b64 v[0:1], 2, v[1:2]
	v_mov_b32_e32 v27, s4
	v_mov_b32_e32 v56, s4
                                        ; implicit-def: $vgpr28
                                        ; implicit-def: $vgpr2
                                        ; implicit-def: $vgpr29
                                        ; implicit-def: $vgpr12
                                        ; implicit-def: $vgpr30
                                        ; implicit-def: $vgpr13
                                        ; implicit-def: $vgpr44
                                        ; implicit-def: $vgpr14
                                        ; implicit-def: $vgpr45
                                        ; implicit-def: $vgpr15
                                        ; implicit-def: $vgpr46
                                        ; implicit-def: $vgpr16
                                        ; implicit-def: $vgpr47
                                        ; implicit-def: $vgpr17
                                        ; implicit-def: $vgpr48
                                        ; implicit-def: $vgpr19
                                        ; implicit-def: $vgpr49
                                        ; implicit-def: $vgpr21
                                        ; implicit-def: $vgpr51
                                        ; implicit-def: $vgpr22
                                        ; implicit-def: $vgpr52
                                        ; implicit-def: $vgpr24
                                        ; implicit-def: $vgpr53
                                        ; implicit-def: $vgpr31
                                        ; implicit-def: $vgpr54
                                        ; implicit-def: $vgpr32
                                        ; implicit-def: $vgpr55
                                        ; implicit-def: $vgpr33
                                        ; implicit-def: $vgpr57
                                        ; implicit-def: $vgpr34
                                        ; implicit-def: $vgpr58
                                        ; implicit-def: $vgpr35
                                        ; implicit-def: $vgpr59
                                        ; implicit-def: $vgpr36
                                        ; implicit-def: $vgpr60
                                        ; implicit-def: $vgpr37
                                        ; implicit-def: $vgpr62
                                        ; implicit-def: $vgpr38
                                        ; implicit-def: $vgpr63
                                        ; implicit-def: $vgpr39
                                        ; implicit-def: $vgpr64
                                        ; implicit-def: $vgpr40
                                        ; implicit-def: $vgpr65
                                        ; implicit-def: $vgpr41
                                        ; implicit-def: $vgpr66
                                        ; implicit-def: $vgpr42
                                        ; implicit-def: $vgpr67
                                        ; implicit-def: $vgpr43
                                        ; implicit-def: $vgpr50
                                        ; implicit-def: $vgpr61
	s_xor_b64 exec, exec, s[2:3]
	s_cbranch_execz .LBB0_15
; %bb.12:
	v_mad_u64_u32 v[2:3], s[0:1], s12, v4, 0
	v_add_u32_e32 v11, 0x2bc, v4
	v_mov_b32_e32 v10, s15
	v_mad_u64_u32 v[6:7], s[0:1], s13, v4, v[3:4]
	v_mad_u64_u32 v[7:8], s[0:1], s12, v11, 0
	v_mov_b32_e32 v3, v6
	v_add_co_u32_e64 v9, s[0:1], s14, v0
	v_mov_b32_e32 v6, v8
	v_addc_co_u32_e64 v20, s[0:1], v10, v1, s[0:1]
	v_mad_u64_u32 v[10:11], s[0:1], s13, v11, v[6:7]
	v_mad_u64_u32 v[11:12], s[0:1], s12, v5, 0
	v_lshlrev_b64 v[2:3], 2, v[2:3]
	v_mov_b32_e32 v8, v10
	v_add_co_u32_e64 v21, s[0:1], v9, v2
	v_mov_b32_e32 v6, v12
	v_addc_co_u32_e64 v22, s[0:1], v20, v3, s[0:1]
	v_lshlrev_b64 v[2:3], 2, v[7:8]
	v_mad_u64_u32 v[6:7], s[0:1], s13, v5, v[6:7]
	v_add_u32_e32 v10, 0x2f4, v4
	v_mad_u64_u32 v[7:8], s[0:1], s12, v10, 0
	v_add_co_u32_e64 v23, s[0:1], v9, v2
	v_mov_b32_e32 v12, v6
	v_mov_b32_e32 v6, v8
	v_addc_co_u32_e64 v24, s[0:1], v20, v3, s[0:1]
	v_lshlrev_b64 v[2:3], 2, v[11:12]
	v_mad_u64_u32 v[10:11], s[0:1], s13, v10, v[6:7]
	v_add_u32_e32 v6, 0x70, v4
	v_mad_u64_u32 v[11:12], s[0:1], s12, v6, 0
	v_add_co_u32_e64 v25, s[0:1], v9, v2
	v_mov_b32_e32 v8, v10
	v_addc_co_u32_e64 v26, s[0:1], v20, v3, s[0:1]
	v_lshlrev_b64 v[2:3], 2, v[7:8]
	v_mov_b32_e32 v7, v12
	v_mad_u64_u32 v[7:8], s[0:1], s13, v6, v[7:8]
	v_add_u32_e32 v8, 0x32c, v4
	v_mad_u64_u32 v[13:14], s[0:1], s12, v8, 0
	v_add_co_u32_e64 v27, s[0:1], v9, v2
	v_mov_b32_e32 v12, v7
	v_mov_b32_e32 v7, v14
	v_addc_co_u32_e64 v28, s[0:1], v20, v3, s[0:1]
	v_lshlrev_b64 v[2:3], 2, v[11:12]
	v_mad_u64_u32 v[10:11], s[0:1], s13, v8, v[7:8]
	v_add_u32_e32 v7, 0xa8, v4
	v_mad_u64_u32 v[11:12], s[0:1], s12, v7, 0
	v_add_co_u32_e64 v29, s[0:1], v9, v2
	v_mov_b32_e32 v14, v10
	v_mov_b32_e32 v8, v12
	v_addc_co_u32_e64 v30, s[0:1], v20, v3, s[0:1]
	v_lshlrev_b64 v[2:3], 2, v[13:14]
	v_mad_u64_u32 v[12:13], s[0:1], s13, v7, v[8:9]
	v_add_u32_e32 v10, 0x364, v4
	v_mad_u64_u32 v[13:14], s[0:1], s12, v10, 0
	v_add_co_u32_e64 v31, s[0:1], v9, v2
	v_addc_co_u32_e64 v32, s[0:1], v20, v3, s[0:1]
	v_lshlrev_b64 v[2:3], 2, v[11:12]
	v_mov_b32_e32 v8, v14
	v_mad_u64_u32 v[10:11], s[0:1], s13, v10, v[8:9]
	v_add_co_u32_e64 v33, s[0:1], v9, v2
	v_addc_co_u32_e64 v34, s[0:1], v20, v3, s[0:1]
	v_add_u32_e32 v3, 0xe0, v4
	v_mad_u64_u32 v[35:36], s[0:1], s12, v3, 0
	v_mov_b32_e32 v14, v10
	v_lshlrev_b64 v[10:11], 2, v[13:14]
	v_mov_b32_e32 v2, v36
	v_add_co_u32_e64 v10, s[0:1], v9, v10
	v_addc_co_u32_e64 v11, s[0:1], v20, v11, s[0:1]
	v_mad_u64_u32 v[18:19], s[0:1], s13, v3, v[2:3]
	global_load_dword v2, v[21:22], off
	global_load_dword v12, v[23:24], off
	;; [unrolled: 1-line block ×8, first 2 shown]
	v_add_u32_e32 v39, 0x39c, v4
	v_mad_u64_u32 v[37:38], s[0:1], s12, v39, 0
	v_mov_b32_e32 v36, v18
	v_lshlrev_b64 v[10:11], 2, v[35:36]
	v_mov_b32_e32 v8, v38
	v_mad_u64_u32 v[21:22], s[0:1], s13, v39, v[8:9]
	v_add_u32_e32 v8, 0x118, v4
	v_mad_u64_u32 v[22:23], s[0:1], s12, v8, 0
	v_add_co_u32_e64 v25, s[0:1], v9, v10
	v_mov_b32_e32 v18, v23
	v_addc_co_u32_e64 v26, s[0:1], v20, v11, s[0:1]
	v_mov_b32_e32 v38, v21
	v_lshlrev_b64 v[10:11], 2, v[37:38]
	v_add_u32_e32 v50, 0x47c, v4
	v_mov_b32_e32 v56, 0
                                        ; implicit-def: $vgpr61
	s_waitcnt vmcnt(0)
	v_mad_u64_u32 v[23:24], s[0:1], s13, v8, v[18:19]
	v_add_u32_e32 v18, 0x3d4, v4
	v_mad_u64_u32 v[27:28], s[0:1], s12, v18, 0
	v_add_co_u32_e64 v29, s[0:1], v9, v10
	v_mov_b32_e32 v10, v28
	v_addc_co_u32_e64 v30, s[0:1], v20, v11, s[0:1]
	v_lshlrev_b64 v[21:22], 2, v[22:23]
	v_mad_u64_u32 v[23:24], s[0:1], s13, v18, v[10:11]
	v_add_u32_e32 v10, 0x150, v4
	v_mad_u64_u32 v[31:32], s[0:1], s12, v10, 0
	v_add_co_u32_e64 v36, s[0:1], v9, v21
	v_mov_b32_e32 v28, v23
	v_add_u32_e32 v18, 0x40c, v4
	v_addc_co_u32_e64 v37, s[0:1], v20, v22, s[0:1]
	v_lshlrev_b64 v[21:22], 2, v[27:28]
	v_mov_b32_e32 v11, v32
	v_mad_u64_u32 v[27:28], s[0:1], s12, v18, 0
	v_mad_u64_u32 v[23:24], s[0:1], s13, v10, v[11:12]
	v_add_co_u32_e64 v38, s[0:1], v9, v21
	v_mov_b32_e32 v11, v28
	v_addc_co_u32_e64 v39, s[0:1], v20, v22, s[0:1]
	v_mov_b32_e32 v32, v23
	v_mad_u64_u32 v[23:24], s[0:1], s13, v18, v[11:12]
	v_add_u32_e32 v11, 0x188, v4
	v_lshlrev_b64 v[21:22], 2, v[31:32]
	v_mad_u64_u32 v[31:32], s[0:1], s12, v11, 0
	v_add_co_u32_e64 v40, s[0:1], v9, v21
	v_mov_b32_e32 v18, v32
	v_addc_co_u32_e64 v41, s[0:1], v20, v22, s[0:1]
	v_mov_b32_e32 v28, v23
	v_mad_u64_u32 v[23:24], s[0:1], s13, v11, v[18:19]
	v_add_u32_e32 v24, 0x444, v4
	v_lshlrev_b64 v[21:22], 2, v[27:28]
	v_mad_u64_u32 v[27:28], s[0:1], s12, v24, 0
	v_add_co_u32_e64 v42, s[0:1], v9, v21
	v_mov_b32_e32 v18, v28
	v_addc_co_u32_e64 v43, s[0:1], v20, v22, s[0:1]
	v_mov_b32_e32 v32, v23
	v_mad_u64_u32 v[23:24], s[0:1], s13, v24, v[18:19]
	v_lshlrev_b64 v[21:22], 2, v[31:32]
	v_or_b32_e32 v18, 0x1c0, v4
	v_add_co_u32_e64 v44, s[0:1], v9, v21
	v_mov_b32_e32 v28, v23
	v_addc_co_u32_e64 v45, s[0:1], v20, v22, s[0:1]
	v_lshlrev_b64 v[21:22], 2, v[27:28]
	v_mad_u64_u32 v[27:28], s[0:1], s12, v18, 0
	v_add_co_u32_e64 v46, s[0:1], v9, v21
	v_mov_b32_e32 v21, v28
	v_addc_co_u32_e64 v47, s[0:1], v20, v22, s[0:1]
	v_mad_u64_u32 v[23:24], s[0:1], s13, v18, v[21:22]
	global_load_dword v21, v[25:26], off
	global_load_dword v22, v[29:30], off
	;; [unrolled: 1-line block ×8, first 2 shown]
	v_mad_u64_u32 v[48:49], s[0:1], s12, v50, 0
	v_mov_b32_e32 v28, v23
	v_lshlrev_b64 v[25:26], 2, v[27:28]
	v_mov_b32_e32 v23, v49
	v_add_u32_e32 v39, 0x4ec, v4
	v_add_u32_e32 v41, 0x524, v4
	s_waitcnt vmcnt(5)
	v_mad_u64_u32 v[27:28], s[0:1], s13, v50, v[23:24]
	v_add_u32_e32 v23, 0x1f8, v4
	v_mad_u64_u32 v[28:29], s[0:1], s12, v23, 0
	v_add_co_u32_e64 v44, s[0:1], v9, v25
	v_mov_b32_e32 v49, v27
	v_mov_b32_e32 v27, v29
	v_addc_co_u32_e64 v45, s[0:1], v20, v26, s[0:1]
	v_mad_u64_u32 v[29:30], s[0:1], s13, v23, v[27:28]
	v_add_u32_e32 v30, 0x4b4, v4
	v_lshlrev_b64 v[25:26], 2, v[48:49]
	v_mad_u64_u32 v[36:37], s[0:1], s12, v30, 0
	v_add_co_u32_e64 v46, s[0:1], v9, v25
	v_addc_co_u32_e64 v47, s[0:1], v20, v26, s[0:1]
	v_lshlrev_b64 v[26:27], 2, v[28:29]
	v_mov_b32_e32 v25, v37
	v_mad_u64_u32 v[28:29], s[0:1], s13, v30, v[25:26]
	v_add_u32_e32 v25, 0x230, v4
	v_mad_u64_u32 v[29:30], s[0:1], s12, v25, 0
	v_add_co_u32_e64 v48, s[0:1], v9, v26
	v_mov_b32_e32 v37, v28
	v_mov_b32_e32 v28, v30
	v_addc_co_u32_e64 v49, s[0:1], v20, v27, s[0:1]
	v_lshlrev_b64 v[26:27], 2, v[36:37]
	v_mad_u64_u32 v[36:37], s[0:1], s13, v25, v[28:29]
	v_mad_u64_u32 v[37:38], s[0:1], s12, v39, 0
	v_add_co_u32_e64 v50, s[0:1], v9, v26
	v_mov_b32_e32 v30, v36
	v_addc_co_u32_e64 v51, s[0:1], v20, v27, s[0:1]
	v_lshlrev_b64 v[27:28], 2, v[29:30]
	v_mov_b32_e32 v26, v38
	v_mad_u64_u32 v[29:30], s[0:1], s13, v39, v[26:27]
	v_add_u32_e32 v26, 0x268, v4
	v_mad_u64_u32 v[39:40], s[0:1], s12, v26, 0
	v_add_co_u32_e64 v27, s[0:1], v9, v27
	v_mov_b32_e32 v38, v29
	v_mov_b32_e32 v36, v40
	v_addc_co_u32_e64 v28, s[0:1], v20, v28, s[0:1]
	v_lshlrev_b64 v[29:30], 2, v[37:38]
	v_mad_u64_u32 v[36:37], s[0:1], s13, v26, v[36:37]
	v_mad_u64_u32 v[37:38], s[0:1], s12, v41, 0
	v_add_co_u32_e64 v29, s[0:1], v9, v29
	v_mov_b32_e32 v40, v36
	v_mov_b32_e32 v36, v38
	v_addc_co_u32_e64 v30, s[0:1], v20, v30, s[0:1]
	v_mad_u64_u32 v[41:42], s[0:1], s13, v41, v[36:37]
	v_lshlrev_b64 v[39:40], 2, v[39:40]
	v_mov_b32_e32 v38, v41
	v_add_co_u32_e64 v52, s[0:1], v9, v39
	v_lshlrev_b64 v[36:37], 2, v[37:38]
	v_addc_co_u32_e64 v53, s[0:1], v20, v40, s[0:1]
	v_add_co_u32_e64 v54, s[0:1], v9, v36
	v_addc_co_u32_e64 v55, s[0:1], v20, v37, s[0:1]
	global_load_dword v36, v[44:45], off
	global_load_dword v37, v[46:47], off
	;; [unrolled: 1-line block ×8, first 2 shown]
	v_cmp_gt_u32_e64 s[0:1], 28, v4
	v_mov_b32_e32 v27, 0
                                        ; implicit-def: $vgpr50
	s_and_saveexec_b64 s[4:5], s[0:1]
	s_cbranch_execz .LBB0_14
; %bb.13:
	v_or_b32_e32 v44, 0x2a0, v4
	v_add_u32_e32 v46, 0x55c, v4
	v_mad_u64_u32 v[27:28], s[0:1], s12, v44, 0
	v_mad_u64_u32 v[29:30], s[0:1], s12, v46, 0
	;; [unrolled: 1-line block ×3, first 2 shown]
	v_mov_b32_e32 v28, v44
	s_waitcnt vmcnt(12)
	v_mad_u64_u32 v[44:45], s[0:1], s13, v46, v[30:31]
	v_lshlrev_b64 v[27:28], 2, v[27:28]
	v_mov_b32_e32 v30, v44
	v_add_co_u32_e64 v27, s[0:1], v9, v27
	v_lshlrev_b64 v[29:30], 2, v[29:30]
	v_addc_co_u32_e64 v28, s[0:1], v20, v28, s[0:1]
	v_add_co_u32_e64 v29, s[0:1], v9, v29
	v_addc_co_u32_e64 v30, s[0:1], v20, v30, s[0:1]
	global_load_dword v56, v[27:28], off
	global_load_dword v61, v[29:30], off
	s_waitcnt vmcnt(1)
	v_lshrrev_b32_e32 v27, 16, v56
	s_waitcnt vmcnt(0)
	v_lshrrev_b32_e32 v50, 16, v61
.LBB0_14:
	s_or_b64 exec, exec, s[4:5]
	v_lshrrev_b32_e32 v28, 16, v2
	v_lshrrev_b32_e32 v29, 16, v12
	;; [unrolled: 1-line block ×11, first 2 shown]
	s_waitcnt vmcnt(12)
	v_lshrrev_b32_e32 v53, 16, v31
	s_waitcnt vmcnt(11)
	v_lshrrev_b32_e32 v54, 16, v32
	;; [unrolled: 2-line block ×13, first 2 shown]
	v_mov_b32_e32 v9, v5
.LBB0_15:
	s_or_b64 exec, exec, s[2:3]
	v_sub_f16_e32 v12, v2, v12
	v_fma_f16 v2, v2, 2.0, -v12
	v_sub_f16_e32 v14, v13, v14
	v_fma_f16 v13, v13, 2.0, -v14
	v_sub_f16_e32 v16, v15, v16
	v_lshl_add_u32 v74, v4, 2, 0
	v_pack_b32_f16 v2, v2, v12
	v_fma_f16 v15, v15, 2.0, -v16
	v_sub_f16_e32 v19, v17, v19
	ds_write_b32 v74, v2
	v_lshl_add_u32 v75, v9, 2, 0
	v_pack_b32_f16 v2, v13, v14
	v_fma_f16 v17, v17, 2.0, -v19
	v_sub_f16_e32 v20, v21, v22
	ds_write_b32 v75, v2
	;; [unrolled: 5-line block ×5, first 2 shown]
	v_lshlrev_b32_e32 v2, 1, v8
	v_lshl_add_u32 v16, v8, 2, 0
	v_pack_b32_f16 v8, v31, v22
	v_fma_f16 v34, v34, 2.0, -v35
	v_sub_f16_e32 v37, v36, v37
	ds_write_b32 v16, v8
	v_lshl_add_u32 v73, v10, 2, 0
	v_pack_b32_f16 v8, v32, v33
	v_fma_f16 v36, v36, 2.0, -v37
	v_sub_f16_e32 v39, v38, v39
	ds_write_b32 v73, v8
	v_lshlrev_b32_e32 v20, 1, v11
	v_lshl_add_u32 v11, v11, 2, 0
	v_pack_b32_f16 v8, v34, v35
	v_fma_f16 v38, v38, 2.0, -v39
	v_sub_f16_e32 v41, v40, v41
	ds_write_b32 v11, v8
	v_lshl_add_u32 v69, v18, 2, 0
	v_pack_b32_f16 v8, v36, v37
	v_fma_f16 v40, v40, 2.0, -v41
	v_sub_f16_e32 v43, v42, v43
	ds_write_b32 v69, v8
	v_lshl_add_u32 v71, v23, 2, 0
	v_pack_b32_f16 v8, v38, v39
	v_fma_f16 v68, v42, 2.0, -v43
	ds_write_b32 v71, v8
	v_lshl_add_u32 v72, v25, 2, 0
	v_pack_b32_f16 v8, v40, v41
	ds_write_b32 v72, v8
	v_lshlrev_b32_e32 v17, 1, v26
	v_lshl_add_u32 v26, v26, 2, 0
	v_pack_b32_f16 v8, v68, v43
	v_sub_f16_e32 v24, v56, v61
	ds_write_b32 v26, v8
	v_add_u32_e32 v8, 0x2a0, v4
	v_fma_f16 v42, v56, 2.0, -v24
	v_lshlrev_b32_e32 v22, 1, v10
	v_lshlrev_b32_e32 v21, 1, v18
	;; [unrolled: 1-line block ×4, first 2 shown]
	v_cmp_gt_u32_e64 s[0:1], 28, v4
	v_lshl_add_u32 v23, v8, 2, 0
	s_and_saveexec_b64 s[2:3], s[0:1]
	s_cbranch_execz .LBB0_17
; %bb.16:
	s_mov_b32 s4, 0x5040100
	v_perm_b32 v10, v24, v42, s4
	ds_write_b32 v23, v10
.LBB0_17:
	s_or_b64 exec, exec, s[2:3]
	v_lshl_add_u32 v10, v4, 1, 0
	v_lshl_add_u32 v13, v6, 1, 0
	;; [unrolled: 1-line block ×3, first 2 shown]
	v_sub_u32_e32 v43, v16, v2
	v_sub_u32_e32 v83, v69, v21
	;; [unrolled: 1-line block ×5, first 2 shown]
	s_waitcnt lgkmcnt(0)
	; wave barrier
	s_waitcnt lgkmcnt(0)
	v_lshl_add_u32 v12, v9, 1, 0
	v_lshl_add_u32 v14, v7, 1, 0
	ds_read_u16 v25, v13
	ds_read_u16 v56, v14
	v_sub_u32_e32 v79, v73, v22
	ds_read_u16 v61, v10
	ds_read_u16 v37, v10 offset:1400
	ds_read_u16 v36, v10 offset:1512
	;; [unrolled: 1-line block ×7, first 2 shown]
	v_sub_u32_e32 v80, v11, v20
	ds_read_u16 v41, v10 offset:2184
	ds_read_u16 v40, v10 offset:2296
	;; [unrolled: 1-line block ×4, first 2 shown]
	ds_read_u16 v68, v15
	ds_read_u16 v70, v43
	;; [unrolled: 1-line block ×9, first 2 shown]
	ds_read_u16 v43, v10 offset:2632
	s_and_saveexec_b64 s[2:3], s[0:1]
	s_cbranch_execz .LBB0_19
; %bb.18:
	ds_read_u16 v42, v10 offset:1344
	ds_read_u16 v24, v10 offset:2744
.LBB0_19:
	s_or_b64 exec, exec, s[2:3]
	v_sub_f16_e32 v29, v28, v29
	v_fma_f16 v28, v28, 2.0, -v29
	v_sub_f16_e32 v44, v30, v44
	v_sub_f16_e32 v50, v27, v50
	v_fma_f16 v30, v30, 2.0, -v44
	v_sub_f16_e32 v46, v45, v46
	v_sub_f16_e32 v87, v47, v48
	v_fma_f16 v48, v27, 2.0, -v50
	v_pack_b32_f16 v27, v28, v29
	v_fma_f16 v45, v45, 2.0, -v46
	s_waitcnt lgkmcnt(0)
	; wave barrier
	s_waitcnt lgkmcnt(0)
	ds_write_b32 v74, v27
	v_pack_b32_f16 v27, v30, v44
	v_fma_f16 v47, v47, 2.0, -v87
	v_sub_f16_e32 v51, v49, v51
	ds_write_b32 v75, v27
	v_pack_b32_f16 v27, v45, v46
	v_fma_f16 v49, v49, 2.0, -v51
	v_sub_f16_e32 v53, v52, v53
	;; [unrolled: 4-line block ×8, first 2 shown]
	ds_write_b32 v69, v27
	v_pack_b32_f16 v27, v62, v63
	v_fma_f16 v66, v66, 2.0, -v67
	ds_write_b32 v71, v27
	v_pack_b32_f16 v27, v64, v65
	v_sub_u32_e32 v80, 0, v2
	v_sub_u32_e32 v79, 0, v22
	;; [unrolled: 1-line block ×7, first 2 shown]
	ds_write_b32 v72, v27
	v_pack_b32_f16 v27, v66, v67
	ds_write_b32 v26, v27
	s_and_saveexec_b64 s[2:3], s[0:1]
	s_cbranch_execz .LBB0_21
; %bb.20:
	s_mov_b32 s4, 0x5040100
	v_perm_b32 v27, v50, v48, s4
	ds_write_b32 v23, v27
.LBB0_21:
	s_or_b64 exec, exec, s[2:3]
	s_waitcnt lgkmcnt(0)
	; wave barrier
	s_waitcnt lgkmcnt(0)
	ds_read_u16 v63, v13
	ds_read_u16 v64, v14
	v_add_u32_e32 v16, v16, v80
	v_add_u32_e32 v44, v73, v79
	ds_read_u16 v66, v10
	ds_read_u16 v92, v10 offset:1400
	ds_read_u16 v91, v10 offset:1512
	ds_read_u16 v88, v10 offset:1624
	ds_read_u16 v87, v10 offset:1736
	ds_read_u16 v80, v10 offset:1848
	ds_read_u16 v78, v10 offset:1960
	ds_read_u16 v79, v10 offset:2072
	v_add_u32_e32 v45, v11, v96
	v_add_u32_e32 v46, v69, v95
	v_add_u32_e32 v47, v71, v94
	v_add_u32_e32 v11, v72, v93
	ds_read_u16 v97, v10 offset:2184
	ds_read_u16 v95, v10 offset:2296
	;; [unrolled: 1-line block ×4, first 2 shown]
	v_add_u32_e32 v49, v26, v90
	ds_read_u16 v77, v15
	ds_read_u16 v76, v16
	;; [unrolled: 1-line block ×9, first 2 shown]
	ds_read_u16 v99, v10 offset:2632
	v_lshlrev_b32_e32 v23, 1, v4
	v_lshlrev_b32_e32 v26, 1, v9
	;; [unrolled: 1-line block ×5, first 2 shown]
	s_and_saveexec_b64 s[2:3], s[0:1]
	s_cbranch_execz .LBB0_23
; %bb.22:
	ds_read_u16 v48, v10 offset:1344
	ds_read_u16 v50, v10 offset:2744
.LBB0_23:
	s_or_b64 exec, exec, s[2:3]
	v_and_b32_e32 v65, 1, v4
	v_lshlrev_b32_e32 v30, 2, v65
	global_load_dword v100, v30, s[8:9]
	s_movk_i32 s4, 0x1fc
	s_movk_i32 s2, 0x7c
	;; [unrolled: 1-line block ×5, first 2 shown]
	v_and_or_b32 v52, v27, s4, v65
	v_and_or_b32 v30, v23, s2, v65
	;; [unrolled: 1-line block ×6, first 2 shown]
	v_lshl_add_u32 v104, v52, 1, 0
	v_lshl_add_u32 v106, v30, 1, 0
	;; [unrolled: 1-line block ×6, first 2 shown]
	s_waitcnt lgkmcnt(0)
	; wave barrier
	s_waitcnt lgkmcnt(0)
	s_movk_i32 s2, 0x7fc
	v_and_or_b32 v57, v22, s5, v65
	s_waitcnt vmcnt(0)
	v_mul_f16_sdwa v52, v88, v100 dst_sel:DWORD dst_unused:UNUSED_PAD src0_sel:DWORD src1_sel:WORD_1
	v_mul_f16_sdwa v30, v92, v100 dst_sel:DWORD dst_unused:UNUSED_PAD src0_sel:DWORD src1_sel:WORD_1
	;; [unrolled: 1-line block ×6, first 2 shown]
	v_fma_f16 v52, v35, v100, -v52
	v_fma_f16 v30, v37, v100, -v30
	;; [unrolled: 1-line block ×6, first 2 shown]
	v_sub_f16_e32 v52, v25, v52
	v_sub_f16_e32 v107, v61, v30
	;; [unrolled: 1-line block ×6, first 2 shown]
	v_fma_f16 v25, v25, 2.0, -v52
	v_fma_f16 v61, v61, 2.0, -v107
	;; [unrolled: 1-line block ×6, first 2 shown]
	ds_write_b16 v106, v107 offset:4
	ds_write_b16 v106, v61
	ds_write_b16 v105, v89
	ds_write_b16 v105, v51 offset:4
	ds_write_b16 v104, v25
	ds_write_b16 v104, v52 offset:4
	;; [unrolled: 2-line block ×5, first 2 shown]
	v_and_or_b32 v25, v20, s5, v65
	v_lshl_add_u32 v108, v25, 1, 0
	v_and_or_b32 v25, v21, s5, v65
	v_mul_f16_sdwa v58, v79, v100 dst_sel:DWORD dst_unused:UNUSED_PAD src0_sel:DWORD src1_sel:WORD_1
	v_mul_f16_sdwa v59, v97, v100 dst_sel:DWORD dst_unused:UNUSED_PAD src0_sel:DWORD src1_sel:WORD_1
	;; [unrolled: 1-line block ×7, first 2 shown]
	v_lshl_add_u32 v109, v25, 1, 0
	v_and_or_b32 v25, v19, s2, v65
	s_movk_i32 s2, 0x4fc
	v_fma_f16 v58, v32, v100, -v58
	v_fma_f16 v59, v41, v100, -v59
	;; [unrolled: 1-line block ×7, first 2 shown]
	v_lshl_add_u32 v110, v25, 1, 0
	v_and_or_b32 v25, v18, s2, v65
	s_movk_i32 s2, 0x5fc
	v_sub_f16_e32 v58, v81, v58
	v_sub_f16_e32 v59, v82, v59
	;; [unrolled: 1-line block ×7, first 2 shown]
	v_lshl_add_u32 v111, v25, 1, 0
	v_and_or_b32 v25, v17, s2, v65
	v_fma_f16 v81, v81, 2.0, -v58
	v_fma_f16 v82, v82, 2.0, -v59
	;; [unrolled: 1-line block ×7, first 2 shown]
	v_lshl_add_u32 v107, v57, 1, 0
	v_lshl_add_u32 v112, v25, 1, 0
	v_lshlrev_b32_e32 v25, 1, v8
	ds_write_b16 v107, v81
	ds_write_b16 v107, v58 offset:4
	ds_write_b16 v108, v82
	ds_write_b16 v108, v59 offset:4
	;; [unrolled: 2-line block ×6, first 2 shown]
	s_and_saveexec_b64 s[2:3], s[0:1]
	s_cbranch_execz .LBB0_25
; %bb.24:
	s_movk_i32 s4, 0x57c
	v_and_or_b32 v51, v25, s4, v65
	v_lshl_add_u32 v51, v51, 1, 0
	ds_write_b16 v51, v42
	ds_write_b16 v51, v30 offset:4
.LBB0_25:
	s_or_b64 exec, exec, s[2:3]
	s_waitcnt lgkmcnt(0)
	; wave barrier
	s_waitcnt lgkmcnt(0)
	ds_read_u16 v67, v13
	ds_read_u16 v68, v14
	;; [unrolled: 1-line block ×3, first 2 shown]
	ds_read_u16 v61, v10 offset:1400
	ds_read_u16 v60, v10 offset:1512
	;; [unrolled: 1-line block ×11, first 2 shown]
	ds_read_u16 v81, v15
	ds_read_u16 v82, v16
	;; [unrolled: 1-line block ×9, first 2 shown]
	ds_read_u16 v62, v10 offset:2632
	s_and_saveexec_b64 s[2:3], s[0:1]
	s_cbranch_execz .LBB0_27
; %bb.26:
	ds_read_u16 v42, v10 offset:1344
	ds_read_u16 v30, v10 offset:2744
.LBB0_27:
	s_or_b64 exec, exec, s[2:3]
	v_mul_f16_sdwa v37, v37, v100 dst_sel:DWORD dst_unused:UNUSED_PAD src0_sel:DWORD src1_sel:WORD_1
	v_mul_f16_sdwa v32, v32, v100 dst_sel:DWORD dst_unused:UNUSED_PAD src0_sel:DWORD src1_sel:WORD_1
	;; [unrolled: 1-line block ×3, first 2 shown]
	v_fma_f16 v37, v92, v100, v37
	v_mul_f16_sdwa v36, v36, v100 dst_sel:DWORD dst_unused:UNUSED_PAD src0_sel:DWORD src1_sel:WORD_1
	v_mul_f16_sdwa v35, v35, v100 dst_sel:DWORD dst_unused:UNUSED_PAD src0_sel:DWORD src1_sel:WORD_1
	;; [unrolled: 1-line block ×5, first 2 shown]
	v_fma_f16 v32, v79, v100, v32
	v_mul_f16_sdwa v41, v41, v100 dst_sel:DWORD dst_unused:UNUSED_PAD src0_sel:DWORD src1_sel:WORD_1
	v_mul_f16_sdwa v40, v40, v100 dst_sel:DWORD dst_unused:UNUSED_PAD src0_sel:DWORD src1_sel:WORD_1
	;; [unrolled: 1-line block ×5, first 2 shown]
	v_fma_f16 v24, v50, v100, v24
	v_fma_f16 v36, v91, v100, v36
	;; [unrolled: 1-line block ×11, first 2 shown]
	v_sub_f16_e32 v37, v66, v37
	v_sub_f16_e32 v78, v75, v32
	;; [unrolled: 1-line block ×3, first 2 shown]
	v_fma_f16 v50, v66, 2.0, -v37
	v_sub_f16_e32 v36, v96, v36
	v_sub_f16_e32 v35, v63, v35
	;; [unrolled: 1-line block ×10, first 2 shown]
	v_fma_f16 v24, v48, 2.0, -v32
	v_fma_f16 v66, v96, 2.0, -v36
	;; [unrolled: 1-line block ×12, first 2 shown]
	s_waitcnt lgkmcnt(0)
	; wave barrier
	s_waitcnt lgkmcnt(0)
	ds_write_b16 v106, v50
	ds_write_b16 v106, v37 offset:4
	ds_write_b16 v105, v66
	ds_write_b16 v105, v36 offset:4
	;; [unrolled: 2-line block ×12, first 2 shown]
	s_and_saveexec_b64 s[2:3], s[0:1]
	s_cbranch_execz .LBB0_29
; %bb.28:
	s_movk_i32 s4, 0x57c
	v_and_or_b32 v31, v25, s4, v65
	v_lshl_add_u32 v31, v31, 1, 0
	ds_write_b16 v31, v24
	ds_write_b16 v31, v32 offset:4
.LBB0_29:
	s_or_b64 exec, exec, s[2:3]
	s_waitcnt lgkmcnt(0)
	; wave barrier
	s_waitcnt lgkmcnt(0)
	ds_read_u16 v33, v13
	ds_read_u16 v34, v14
	;; [unrolled: 1-line block ×3, first 2 shown]
	ds_read_u16 v75, v10 offset:1400
	ds_read_u16 v74, v10 offset:1512
	;; [unrolled: 1-line block ×11, first 2 shown]
	ds_read_u16 v48, v15
	ds_read_u16 v43, v16
	;; [unrolled: 1-line block ×9, first 2 shown]
	ds_read_u16 v45, v10 offset:2632
	s_and_saveexec_b64 s[2:3], s[0:1]
	s_cbranch_execz .LBB0_31
; %bb.30:
	ds_read_u16 v24, v10 offset:1344
	ds_read_u16 v32, v10 offset:2744
.LBB0_31:
	s_or_b64 exec, exec, s[2:3]
	v_and_b32_e32 v31, 3, v4
	v_lshlrev_b32_e32 v46, 2, v31
	global_load_dword v46, v46, s[8:9] offset:8
	s_movk_i32 s2, 0x78
	s_movk_i32 s4, 0x1f8
	;; [unrolled: 1-line block ×5, first 2 shown]
	v_and_or_b32 v23, v23, s2, v31
	v_and_or_b32 v27, v27, s4, v31
	;; [unrolled: 1-line block ×7, first 2 shown]
	v_lshl_add_u32 v76, v23, 1, 0
	v_lshl_add_u32 v47, v27, 1, 0
	;; [unrolled: 1-line block ×5, first 2 shown]
	s_movk_i32 s2, 0x7f8
	v_lshl_add_u32 v49, v26, 1, 0
	v_lshl_add_u32 v26, v22, 1, 0
	v_and_or_b32 v19, v19, s2, v31
	s_movk_i32 s2, 0x4f8
	v_and_or_b32 v18, v18, s2, v31
	s_movk_i32 s2, 0x5f8
	v_and_or_b32 v20, v20, s5, v31
	v_and_or_b32 v21, v21, s5, v31
	;; [unrolled: 1-line block ×3, first 2 shown]
	s_waitcnt lgkmcnt(0)
	; wave barrier
	s_waitcnt lgkmcnt(0)
	v_lshl_add_u32 v20, v20, 1, 0
	s_waitcnt vmcnt(0)
	v_mul_f16_sdwa v2, v75, v46 dst_sel:DWORD dst_unused:UNUSED_PAD src0_sel:DWORD src1_sel:WORD_1
	v_mul_f16_sdwa v23, v73, v46 dst_sel:DWORD dst_unused:UNUSED_PAD src0_sel:DWORD src1_sel:WORD_1
	;; [unrolled: 1-line block ×12, first 2 shown]
	v_fma_f16 v2, v61, v46, -v2
	v_fma_f16 v23, v59, v46, -v23
	;; [unrolled: 1-line block ×3, first 2 shown]
	v_mul_f16_sdwa v94, v32, v46 dst_sel:DWORD dst_unused:UNUSED_PAD src0_sel:DWORD src1_sel:WORD_1
	v_fma_f16 v22, v60, v46, -v22
	v_fma_f16 v78, v52, v46, -v78
	v_fma_f16 v79, v53, v46, -v79
	v_fma_f16 v80, v54, v46, -v80
	v_fma_f16 v87, v55, v46, -v87
	v_fma_f16 v88, v56, v46, -v88
	v_fma_f16 v91, v57, v46, -v91
	v_fma_f16 v92, v58, v46, -v92
	v_fma_f16 v93, v62, v46, -v93
	v_sub_f16_e32 v95, v70, v2
	v_sub_f16_e32 v23, v67, v23
	;; [unrolled: 1-line block ×3, first 2 shown]
	v_fma_f16 v94, v30, v46, -v94
	v_sub_f16_e32 v22, v98, v22
	v_sub_f16_e32 v78, v81, v78
	;; [unrolled: 1-line block ×9, first 2 shown]
	v_fma_f16 v70, v70, 2.0, -v95
	v_fma_f16 v67, v67, 2.0, -v23
	;; [unrolled: 1-line block ×3, first 2 shown]
	v_sub_f16_e32 v2, v42, v94
	v_fma_f16 v94, v98, 2.0, -v22
	v_fma_f16 v81, v81, 2.0, -v78
	;; [unrolled: 1-line block ×9, first 2 shown]
	ds_write_b16 v76, v95 offset:8
	ds_write_b16 v76, v70
	ds_write_b16 v49, v94
	ds_write_b16 v49, v22 offset:8
	ds_write_b16 v47, v67
	ds_write_b16 v47, v23 offset:8
	;; [unrolled: 2-line block ×6, first 2 shown]
	v_lshl_add_u32 v67, v21, 1, 0
	v_lshl_add_u32 v68, v19, 1, 0
	;; [unrolled: 1-line block ×4, first 2 shown]
	ds_write_b16 v20, v84
	ds_write_b16 v20, v87 offset:8
	ds_write_b16 v67, v85
	ds_write_b16 v67, v88 offset:8
	;; [unrolled: 2-line block ×5, first 2 shown]
	s_and_saveexec_b64 s[2:3], s[0:1]
	s_cbranch_execz .LBB0_33
; %bb.32:
	s_movk_i32 s4, 0x578
	v_and_or_b32 v18, v25, s4, v31
	v_fma_f16 v17, v42, 2.0, -v2
	v_lshl_add_u32 v18, v18, 1, 0
	ds_write_b16 v18, v17
	ds_write_b16 v18, v2 offset:8
.LBB0_33:
	s_or_b64 exec, exec, s[2:3]
	v_mul_f16_sdwa v21, v51, v46 dst_sel:DWORD dst_unused:UNUSED_PAD src0_sel:DWORD src1_sel:WORD_1
	v_mul_f16_sdwa v17, v61, v46 dst_sel:DWORD dst_unused:UNUSED_PAD src0_sel:DWORD src1_sel:WORD_1
	v_mul_f16_sdwa v18, v60, v46 dst_sel:DWORD dst_unused:UNUSED_PAD src0_sel:DWORD src1_sel:WORD_1
	v_mul_f16_sdwa v19, v59, v46 dst_sel:DWORD dst_unused:UNUSED_PAD src0_sel:DWORD src1_sel:WORD_1
	v_fma_f16 v21, v50, v46, v21
	v_mul_f16_sdwa v22, v52, v46 dst_sel:DWORD dst_unused:UNUSED_PAD src0_sel:DWORD src1_sel:WORD_1
	v_mul_f16_sdwa v23, v53, v46 dst_sel:DWORD dst_unused:UNUSED_PAD src0_sel:DWORD src1_sel:WORD_1
	;; [unrolled: 1-line block ×8, first 2 shown]
	v_fma_f16 v17, v75, v46, v17
	v_fma_f16 v18, v74, v46, v18
	;; [unrolled: 1-line block ×11, first 2 shown]
	v_mul_f16_sdwa v30, v30, v46 dst_sel:DWORD dst_unused:UNUSED_PAD src0_sel:DWORD src1_sel:WORD_1
	v_fma_f16 v30, v32, v46, v30
	v_sub_f16_e32 v54, v35, v17
	v_sub_f16_e32 v56, v44, v18
	;; [unrolled: 1-line block ×12, first 2 shown]
	v_fma_f16 v55, v35, 2.0, -v54
	v_fma_f16 v57, v44, 2.0, -v56
	;; [unrolled: 1-line block ×12, first 2 shown]
	v_sub_f16_e32 v17, v24, v30
	s_waitcnt lgkmcnt(0)
	; wave barrier
	s_waitcnt lgkmcnt(0)
	ds_read_u16 v40, v11
	ds_read_u16 v38, v10 offset:2352
	ds_read_u16 v21, v13
	ds_read_u16 v18, v14
	ds_read_u16 v23, v10
	ds_read_u16 v45, v10 offset:672
	ds_read_u16 v41, v10 offset:784
	;; [unrolled: 1-line block ×10, first 2 shown]
	ds_read_u16 v52, v16
	ds_read_u16 v19, v15
	ds_read_u16 v48, v10 offset:1232
	ds_read_u16 v34, v10 offset:1008
	;; [unrolled: 1-line block ×6, first 2 shown]
	ds_read_u16 v22, v12
	ds_read_u16 v32, v10 offset:2688
	s_waitcnt lgkmcnt(0)
	; wave barrier
	s_waitcnt lgkmcnt(0)
	ds_write_b16 v76, v55
	ds_write_b16 v76, v54 offset:8
	ds_write_b16 v49, v57
	ds_write_b16 v49, v56 offset:8
	;; [unrolled: 2-line block ×12, first 2 shown]
	s_and_saveexec_b64 s[2:3], s[0:1]
	s_cbranch_execz .LBB0_35
; %bb.34:
	s_movk_i32 s0, 0x578
	v_fma_f16 v20, v24, 2.0, -v17
	v_and_or_b32 v24, v25, s0, v31
	v_lshl_add_u32 v24, v24, 1, 0
	ds_write_b16 v24, v20
	ds_write_b16 v24, v17 offset:8
.LBB0_35:
	s_or_b64 exec, exec, s[2:3]
	v_and_b32_e32 v24, 7, v4
	v_lshlrev_b32_e32 v20, 4, v24
	s_waitcnt lgkmcnt(0)
	; wave barrier
	s_waitcnt lgkmcnt(0)
	global_load_dwordx4 v[90:93], v20, s[8:9] offset:24
	ds_read_u16 v25, v11
	ds_read_u16 v29, v10 offset:2352
	ds_read_u16 v27, v13
	ds_read_u16 v26, v14
	;; [unrolled: 1-line block ×3, first 2 shown]
	ds_read_u16 v31, v10 offset:672
	ds_read_u16 v47, v10 offset:784
	;; [unrolled: 1-line block ×10, first 2 shown]
	ds_read_u16 v61, v16
	ds_read_u16 v20, v15
	ds_read_u16 v62, v10 offset:1232
	ds_read_u16 v94, v10 offset:1008
	;; [unrolled: 1-line block ×6, first 2 shown]
	ds_read_u16 v28, v12
	ds_read_u16 v97, v10 offset:2688
	s_movk_i32 s5, 0x3b9c
	s_mov_b32 s7, 0xbb9c
	s_movk_i32 s4, 0x38b4
	s_mov_b32 s10, 0xb8b4
	s_movk_i32 s6, 0x34f2
	s_waitcnt lgkmcnt(0)
	; wave barrier
	s_waitcnt lgkmcnt(0)
	v_cmp_gt_u32_e64 s[0:1], 32, v4
	s_waitcnt vmcnt(0)
	v_mul_f16_sdwa v68, v40, v91 dst_sel:DWORD dst_unused:UNUSED_PAD src0_sel:DWORD src1_sel:WORD_1
	v_mul_f16_sdwa v67, v25, v91 dst_sel:DWORD dst_unused:UNUSED_PAD src0_sel:DWORD src1_sel:WORD_1
	;; [unrolled: 1-line block ×3, first 2 shown]
	v_fma_f16 v83, v25, v91, v68
	v_mul_f16_sdwa v25, v37, v91 dst_sel:DWORD dst_unused:UNUSED_PAD src0_sel:DWORD src1_sel:WORD_1
	v_mul_f16_sdwa v70, v53, v92 dst_sel:DWORD dst_unused:UNUSED_PAD src0_sel:DWORD src1_sel:WORD_1
	;; [unrolled: 1-line block ×3, first 2 shown]
	v_fma_f16 v87, v40, v91, -v67
	v_fma_f16 v67, v57, v92, v105
	v_fma_f16 v57, v55, v91, v25
	v_mul_f16_sdwa v25, v58, v92 dst_sel:DWORD dst_unused:UNUSED_PAD src0_sel:DWORD src1_sel:WORD_1
	v_mul_f16_sdwa v69, v64, v92 dst_sel:DWORD dst_unused:UNUSED_PAD src0_sel:DWORD src1_sel:WORD_1
	v_fma_f16 v84, v64, v92, v70
	v_fma_f16 v64, v36, v92, -v25
	v_mul_f16_sdwa v25, v36, v92 dst_sel:DWORD dst_unused:UNUSED_PAD src0_sel:DWORD src1_sel:WORD_1
	v_fma_f16 v58, v58, v92, v25
	v_mul_f16_sdwa v25, v60, v93 dst_sel:DWORD dst_unused:UNUSED_PAD src0_sel:DWORD src1_sel:WORD_1
	v_fma_f16 v68, v33, v93, -v25
	v_mul_f16_sdwa v25, v33, v93 dst_sel:DWORD dst_unused:UNUSED_PAD src0_sel:DWORD src1_sel:WORD_1
	v_fma_f16 v60, v60, v93, v25
	v_mul_f16_sdwa v25, v94, v90 dst_sel:DWORD dst_unused:UNUSED_PAD src0_sel:DWORD src1_sel:WORD_1
	v_mul_f16_sdwa v66, v52, v90 dst_sel:DWORD dst_unused:UNUSED_PAD src0_sel:DWORD src1_sel:WORD_1
	;; [unrolled: 1-line block ×5, first 2 shown]
	v_fma_f16 v55, v34, v90, -v25
	v_mul_f16_sdwa v25, v34, v90 dst_sel:DWORD dst_unused:UNUSED_PAD src0_sel:DWORD src1_sel:WORD_1
	v_mul_f16_sdwa v75, v62, v91 dst_sel:DWORD dst_unused:UNUSED_PAD src0_sel:DWORD src1_sel:WORD_1
	;; [unrolled: 1-line block ×6, first 2 shown]
	v_fma_f16 v81, v61, v90, v66
	v_fma_f16 v66, v54, v91, v103
	;; [unrolled: 1-line block ×4, first 2 shown]
	v_mul_f16_sdwa v25, v96, v91 dst_sel:DWORD dst_unused:UNUSED_PAD src0_sel:DWORD src1_sel:WORD_1
	v_mul_f16_sdwa v71, v63, v93 dst_sel:DWORD dst_unused:UNUSED_PAD src0_sel:DWORD src1_sel:WORD_1
	;; [unrolled: 1-line block ×3, first 2 shown]
	v_fma_f16 v79, v48, v91, -v75
	v_fma_f16 v75, v62, v91, v76
	v_fma_f16 v76, v56, v92, v82
	v_fma_f16 v56, v35, v91, -v25
	v_mul_f16_sdwa v25, v35, v91 dst_sel:DWORD dst_unused:UNUSED_PAD src0_sel:DWORD src1_sel:WORD_1
	v_mul_f16_sdwa v72, v51, v93 dst_sel:DWORD dst_unused:UNUSED_PAD src0_sel:DWORD src1_sel:WORD_1
	;; [unrolled: 1-line block ×4, first 2 shown]
	v_fma_f16 v88, v53, v92, -v69
	v_fma_f16 v89, v51, v93, -v71
	v_fma_f16 v51, v96, v91, v25
	v_mul_f16_sdwa v25, v95, v92 dst_sel:DWORD dst_unused:UNUSED_PAD src0_sel:DWORD src1_sel:WORD_1
	v_mul_f16_sdwa v65, v61, v90 dst_sel:DWORD dst_unused:UNUSED_PAD src0_sel:DWORD src1_sel:WORD_1
	;; [unrolled: 1-line block ×4, first 2 shown]
	v_fma_f16 v85, v63, v93, v72
	v_fma_f16 v80, v46, v92, -v77
	v_fma_f16 v77, v29, v93, v99
	v_fma_f16 v69, v59, v93, v107
	v_fma_f16 v59, v30, v92, -v25
	v_mul_f16_sdwa v25, v30, v92 dst_sel:DWORD dst_unused:UNUSED_PAD src0_sel:DWORD src1_sel:WORD_1
	v_add_f16_e32 v29, v87, v88
	v_mul_f16_sdwa v73, v31, v90 dst_sel:DWORD dst_unused:UNUSED_PAD src0_sel:DWORD src1_sel:WORD_1
	v_mul_f16_sdwa v74, v45, v90 dst_sel:DWORD dst_unused:UNUSED_PAD src0_sel:DWORD src1_sel:WORD_1
	v_fma_f16 v86, v52, v90, -v65
	v_fma_f16 v52, v95, v92, v25
	v_mul_f16_sdwa v25, v97, v93 dst_sel:DWORD dst_unused:UNUSED_PAD src0_sel:DWORD src1_sel:WORD_1
	v_fma_f16 v29, v29, -0.5, v23
	v_sub_f16_e32 v30, v81, v85
	v_fma_f16 v78, v45, v90, -v73
	v_fma_f16 v73, v31, v90, v74
	v_fma_f16 v61, v32, v93, -v25
	v_mul_f16_sdwa v25, v32, v93 dst_sel:DWORD dst_unused:UNUSED_PAD src0_sel:DWORD src1_sel:WORD_1
	v_fma_f16 v31, v30, s5, v29
	v_sub_f16_e32 v32, v83, v84
	v_sub_f16_e32 v33, v86, v87
	;; [unrolled: 1-line block ×3, first 2 shown]
	v_fma_f16 v29, v30, s7, v29
	v_fma_f16 v31, v32, s4, v31
	v_add_f16_e32 v33, v33, v34
	v_fma_f16 v29, v32, s10, v29
	v_fma_f16 v31, v33, s6, v31
	;; [unrolled: 1-line block ×3, first 2 shown]
	v_add_f16_e32 v33, v86, v89
	v_fma_f16 v53, v97, v93, v25
	v_add_f16_e32 v25, v23, v86
	v_fma_f16 v23, v33, -0.5, v23
	v_fma_f16 v33, v32, s7, v23
	v_sub_f16_e32 v34, v87, v86
	v_sub_f16_e32 v35, v88, v89
	v_fma_f16 v23, v32, s5, v23
	v_add_f16_e32 v34, v34, v35
	v_fma_f16 v23, v30, s10, v23
	v_fma_f16 v33, v30, s4, v33
	;; [unrolled: 1-line block ×3, first 2 shown]
	v_add_f16_e32 v23, v22, v78
	v_add_f16_e32 v23, v23, v79
	v_fma_f16 v82, v38, v93, -v98
	v_add_f16_e32 v23, v23, v80
	v_add_f16_e32 v32, v23, v82
	;; [unrolled: 1-line block ×3, first 2 shown]
	v_fma_f16 v33, v34, s6, v33
	v_fma_f16 v23, v23, -0.5, v22
	v_sub_f16_e32 v34, v73, v77
	v_fma_f16 v63, v37, v91, -v110
	v_fma_f16 v35, v34, s5, v23
	v_sub_f16_e32 v36, v75, v76
	v_sub_f16_e32 v37, v78, v79
	;; [unrolled: 1-line block ×3, first 2 shown]
	v_fma_f16 v23, v34, s7, v23
	v_fma_f16 v35, v36, s4, v35
	v_add_f16_e32 v37, v37, v38
	v_fma_f16 v23, v36, s10, v23
	v_fma_f16 v35, v37, s6, v35
	;; [unrolled: 1-line block ×3, first 2 shown]
	v_add_f16_e32 v23, v78, v82
	v_fma_f16 v22, v23, -0.5, v22
	v_mul_f16_sdwa v100, v47, v90 dst_sel:DWORD dst_unused:UNUSED_PAD src0_sel:DWORD src1_sel:WORD_1
	v_fma_f16 v62, v39, v90, -v108
	v_fma_f16 v23, v36, s7, v22
	v_sub_f16_e32 v38, v79, v78
	v_sub_f16_e32 v39, v80, v82
	v_fma_f16 v22, v36, s5, v22
	v_fma_f16 v70, v41, v90, -v100
	v_add_f16_e32 v38, v38, v39
	v_fma_f16 v22, v34, s10, v22
	v_fma_f16 v71, v42, v91, -v102
	v_fma_f16 v23, v34, s4, v23
	v_fma_f16 v34, v38, s6, v22
	v_add_f16_e32 v22, v21, v70
	v_fma_f16 v72, v43, v92, -v104
	v_add_f16_e32 v22, v22, v71
	v_mul_f16_sdwa v101, v41, v90 dst_sel:DWORD dst_unused:UNUSED_PAD src0_sel:DWORD src1_sel:WORD_1
	v_fma_f16 v74, v44, v93, -v106
	v_add_f16_e32 v22, v22, v72
	v_fma_f16 v65, v47, v90, v101
	v_add_f16_e32 v36, v22, v74
	v_add_f16_e32 v22, v71, v72
	v_fma_f16 v39, v38, s6, v23
	v_fma_f16 v22, v22, -0.5, v21
	v_sub_f16_e32 v23, v65, v69
	v_fma_f16 v38, v23, s5, v22
	v_sub_f16_e32 v40, v66, v67
	v_sub_f16_e32 v41, v70, v71
	v_sub_f16_e32 v42, v74, v72
	v_fma_f16 v22, v23, s7, v22
	v_fma_f16 v38, v40, s4, v38
	v_add_f16_e32 v41, v41, v42
	v_fma_f16 v22, v40, s10, v22
	v_fma_f16 v38, v41, s6, v38
	;; [unrolled: 1-line block ×3, first 2 shown]
	v_add_f16_e32 v22, v70, v74
	v_fma_f16 v21, v22, -0.5, v21
	v_fma_f16 v22, v40, s7, v21
	v_sub_f16_e32 v42, v71, v70
	v_sub_f16_e32 v43, v72, v74
	v_fma_f16 v21, v40, s5, v21
	v_add_f16_e32 v42, v42, v43
	v_fma_f16 v21, v23, s10, v21
	v_fma_f16 v40, v42, s6, v21
	v_add_f16_e32 v21, v18, v62
	v_add_f16_e32 v21, v21, v63
	v_fma_f16 v22, v23, s4, v22
	v_add_f16_e32 v21, v21, v64
	v_fma_f16 v43, v42, s6, v22
	v_add_f16_e32 v42, v21, v68
	v_add_f16_e32 v21, v63, v64
	v_fma_f16 v21, v21, -0.5, v18
	v_sub_f16_e32 v22, v54, v60
	v_fma_f16 v23, v22, s5, v21
	v_sub_f16_e32 v44, v57, v58
	v_sub_f16_e32 v45, v62, v63
	;; [unrolled: 1-line block ×3, first 2 shown]
	v_fma_f16 v21, v22, s7, v21
	v_fma_f16 v23, v44, s4, v23
	v_add_f16_e32 v45, v45, v46
	v_fma_f16 v21, v44, s10, v21
	v_fma_f16 v46, v45, s6, v23
	;; [unrolled: 1-line block ×3, first 2 shown]
	v_add_f16_e32 v21, v62, v68
	v_fma_f16 v18, v21, -0.5, v18
	v_fma_f16 v21, v44, s7, v18
	v_sub_f16_e32 v23, v63, v62
	v_sub_f16_e32 v47, v64, v68
	v_fma_f16 v18, v44, s5, v18
	v_add_f16_e32 v23, v23, v47
	v_fma_f16 v18, v22, s10, v18
	v_fma_f16 v44, v23, s6, v18
	v_add_f16_e32 v18, v19, v55
	v_add_f16_e32 v18, v18, v56
	;; [unrolled: 1-line block ×3, first 2 shown]
	v_fma_f16 v21, v22, s4, v21
	v_add_f16_e32 v48, v18, v61
	v_add_f16_e32 v18, v56, v59
	v_fma_f16 v47, v23, s6, v21
	v_fma_f16 v21, v18, -0.5, v19
	v_sub_f16_e32 v23, v49, v53
	v_fma_f16 v18, v23, s5, v21
	v_sub_f16_e32 v90, v51, v52
	v_sub_f16_e32 v22, v55, v56
	;; [unrolled: 1-line block ×3, first 2 shown]
	v_fma_f16 v21, v23, s7, v21
	v_fma_f16 v18, v90, s4, v18
	v_add_f16_e32 v22, v22, v91
	v_fma_f16 v21, v90, s10, v21
	v_fma_f16 v18, v22, s6, v18
	;; [unrolled: 1-line block ×3, first 2 shown]
	v_add_f16_e32 v22, v55, v61
	v_fma_f16 v19, v22, -0.5, v19
	v_fma_f16 v22, v90, s7, v19
	v_sub_f16_e32 v91, v56, v55
	v_sub_f16_e32 v92, v59, v61
	v_fma_f16 v19, v90, s5, v19
	v_add_f16_e32 v91, v91, v92
	v_fma_f16 v19, v23, s10, v19
	v_fma_f16 v22, v23, s4, v22
	;; [unrolled: 1-line block ×3, first 2 shown]
	v_lshrrev_b32_e32 v19, 3, v4
	v_mul_u32_u24_e32 v19, 40, v19
	v_or_b32_e32 v19, v19, v24
	v_lshl_add_u32 v90, v19, 1, 0
	v_lshrrev_b32_e32 v19, 3, v9
	v_mul_lo_u32 v19, v19, 40
	v_fma_f16 v22, v91, s6, v22
	v_add_f16_e32 v25, v25, v87
	v_add_f16_e32 v25, v25, v88
	v_or_b32_e32 v19, v19, v24
	v_lshl_add_u32 v91, v19, 1, 0
	v_lshrrev_b32_e32 v19, 3, v6
	v_mul_lo_u32 v19, v19, 40
	v_add_f16_e32 v25, v25, v89
	ds_write_b16 v90, v25
	ds_write_b16 v90, v31 offset:16
	ds_write_b16 v90, v33 offset:32
	ds_write_b16 v90, v30 offset:48
	ds_write_b16 v90, v29 offset:64
	v_or_b32_e32 v19, v19, v24
	v_lshl_add_u32 v92, v19, 1, 0
	v_lshrrev_b32_e32 v19, 3, v7
	v_mul_lo_u32 v19, v19, 40
	ds_write_b16 v91, v32
	ds_write_b16 v91, v35 offset:16
	ds_write_b16 v91, v39 offset:32
	;; [unrolled: 1-line block ×4, first 2 shown]
	ds_write_b16 v92, v36
	ds_write_b16 v92, v38 offset:16
	v_or_b32_e32 v19, v19, v24
	v_lshl_add_u32 v93, v19, 1, 0
	v_lshrrev_b32_e32 v19, 3, v3
	v_mul_lo_u32 v19, v19, 40
	ds_write_b16 v92, v43 offset:32
	ds_write_b16 v92, v40 offset:48
	;; [unrolled: 1-line block ×3, first 2 shown]
	ds_write_b16 v93, v42
	ds_write_b16 v93, v46 offset:16
	ds_write_b16 v93, v47 offset:32
	ds_write_b16 v93, v44 offset:48
	ds_write_b16 v93, v45 offset:64
	v_or_b32_e32 v19, v19, v24
	v_lshl_add_u32 v94, v19, 1, 0
	ds_write_b16 v94, v48
	ds_write_b16 v94, v18 offset:16
	ds_write_b16 v94, v22 offset:32
	;; [unrolled: 1-line block ×4, first 2 shown]
	s_waitcnt lgkmcnt(0)
	; wave barrier
	s_waitcnt lgkmcnt(0)
	ds_read_u16 v25, v10
	ds_read_u16 v43, v10 offset:400
	ds_read_u16 v41, v10 offset:512
	ds_read_u16 v38, v10 offset:912
	ds_read_u16 v37, v10 offset:1312
	ds_read_u16 v36, v10 offset:1712
	ds_read_u16 v44, v10 offset:2400
	ds_read_u16 v35, v10 offset:2512
	ds_read_u16 v19, v13
	ds_read_u16 v45, v10 offset:1200
	ds_read_u16 v33, v10 offset:1024
	;; [unrolled: 1-line block ×10, first 2 shown]
	ds_read_u16 v24, v12
	ds_read_u16 v32, v10 offset:2624
                                        ; implicit-def: $vgpr29
                                        ; implicit-def: $vgpr30
	s_and_saveexec_b64 s[2:3], s[0:1]
	s_cbranch_execz .LBB0_37
; %bb.36:
	ds_read_u16 v22, v10 offset:736
	ds_read_u16 v23, v10 offset:1136
	;; [unrolled: 1-line block ×5, first 2 shown]
	ds_read_u16 v18, v14
	ds_read_u16 v29, v10 offset:2736
.LBB0_37:
	s_or_b64 exec, exec, s[2:3]
	v_add_f16_e32 v96, v83, v84
	v_fma_f16 v96, v96, -0.5, v50
	v_sub_f16_e32 v86, v86, v89
	v_fma_f16 v89, v86, s7, v96
	v_sub_f16_e32 v87, v87, v88
	v_fma_f16 v88, v87, s10, v89
	v_sub_f16_e32 v89, v81, v83
	v_sub_f16_e32 v97, v85, v84
	v_fma_f16 v96, v86, s5, v96
	v_add_f16_e32 v89, v89, v97
	v_fma_f16 v96, v87, s4, v96
	v_fma_f16 v88, v89, s6, v88
	;; [unrolled: 1-line block ×3, first 2 shown]
	v_add_f16_e32 v96, v81, v85
	v_add_f16_e32 v95, v50, v81
	v_fma_f16 v50, v96, -0.5, v50
	v_add_f16_e32 v95, v95, v83
	v_fma_f16 v96, v87, s5, v50
	v_sub_f16_e32 v81, v83, v81
	v_sub_f16_e32 v83, v84, v85
	v_fma_f16 v50, v87, s7, v50
	v_fma_f16 v96, v86, s10, v96
	v_add_f16_e32 v81, v81, v83
	v_fma_f16 v50, v86, s4, v50
	v_fma_f16 v83, v81, s6, v96
	;; [unrolled: 1-line block ×3, first 2 shown]
	v_add_f16_e32 v50, v28, v73
	v_add_f16_e32 v50, v50, v75
	;; [unrolled: 1-line block ×6, first 2 shown]
	v_fma_f16 v50, v50, -0.5, v28
	v_sub_f16_e32 v78, v78, v82
	v_fma_f16 v82, v78, s7, v50
	v_sub_f16_e32 v79, v79, v80
	v_add_f16_e32 v95, v95, v85
	v_fma_f16 v80, v79, s10, v82
	v_sub_f16_e32 v82, v73, v75
	v_sub_f16_e32 v85, v77, v76
	v_fma_f16 v50, v78, s5, v50
	v_add_f16_e32 v82, v82, v85
	v_fma_f16 v50, v79, s4, v50
	v_fma_f16 v80, v82, s6, v80
	;; [unrolled: 1-line block ×3, first 2 shown]
	v_add_f16_e32 v50, v73, v77
	v_fma_f16 v28, v50, -0.5, v28
	v_fma_f16 v50, v79, s5, v28
	v_sub_f16_e32 v73, v75, v73
	v_sub_f16_e32 v75, v76, v77
	v_fma_f16 v28, v79, s7, v28
	v_fma_f16 v50, v78, s10, v50
	v_add_f16_e32 v73, v73, v75
	v_fma_f16 v28, v78, s4, v28
	v_fma_f16 v75, v73, s6, v50
	;; [unrolled: 1-line block ×3, first 2 shown]
	v_add_f16_e32 v28, v27, v65
	v_add_f16_e32 v28, v28, v66
	;; [unrolled: 1-line block ×5, first 2 shown]
	v_fma_f16 v28, v28, -0.5, v27
	v_sub_f16_e32 v50, v70, v74
	v_fma_f16 v70, v50, s7, v28
	v_sub_f16_e32 v71, v71, v72
	v_sub_f16_e32 v72, v65, v66
	;; [unrolled: 1-line block ×3, first 2 shown]
	v_fma_f16 v28, v50, s5, v28
	v_fma_f16 v70, v71, s10, v70
	v_add_f16_e32 v72, v72, v74
	v_fma_f16 v28, v71, s4, v28
	v_fma_f16 v70, v72, s6, v70
	;; [unrolled: 1-line block ×3, first 2 shown]
	v_add_f16_e32 v28, v65, v69
	v_fma_f16 v27, v28, -0.5, v27
	v_fma_f16 v28, v71, s5, v27
	v_sub_f16_e32 v65, v66, v65
	v_sub_f16_e32 v66, v67, v69
	v_fma_f16 v28, v50, s10, v28
	v_add_f16_e32 v65, v65, v66
	v_fma_f16 v66, v65, s6, v28
	v_add_f16_e32 v28, v26, v54
	v_fma_f16 v27, v71, s7, v27
	v_add_f16_e32 v28, v28, v57
	v_fma_f16 v27, v50, s4, v27
	v_add_f16_e32 v28, v28, v58
	v_fma_f16 v27, v65, s6, v27
	v_add_f16_e32 v65, v28, v60
	v_add_f16_e32 v28, v57, v58
	v_fma_f16 v28, v28, -0.5, v26
	v_sub_f16_e32 v50, v62, v68
	v_fma_f16 v62, v50, s7, v28
	v_sub_f16_e32 v63, v63, v64
	v_sub_f16_e32 v64, v54, v57
	;; [unrolled: 1-line block ×3, first 2 shown]
	v_fma_f16 v28, v50, s5, v28
	v_fma_f16 v62, v63, s10, v62
	v_add_f16_e32 v64, v64, v67
	v_fma_f16 v28, v63, s4, v28
	v_fma_f16 v62, v64, s6, v62
	;; [unrolled: 1-line block ×3, first 2 shown]
	v_add_f16_e32 v28, v54, v60
	v_fma_f16 v26, v28, -0.5, v26
	v_fma_f16 v28, v63, s5, v26
	v_sub_f16_e32 v54, v57, v54
	v_sub_f16_e32 v57, v58, v60
	v_fma_f16 v28, v50, s10, v28
	v_add_f16_e32 v54, v54, v57
	v_fma_f16 v57, v54, s6, v28
	v_add_f16_e32 v28, v20, v49
	;; [unrolled: 2-line block ×5, first 2 shown]
	v_add_f16_e32 v28, v51, v52
	v_fma_f16 v50, v28, -0.5, v20
	v_sub_f16_e32 v55, v55, v61
	v_fma_f16 v28, v55, s7, v50
	v_sub_f16_e32 v56, v56, v59
	v_sub_f16_e32 v58, v49, v51
	;; [unrolled: 1-line block ×3, first 2 shown]
	v_fma_f16 v50, v55, s5, v50
	v_fma_f16 v28, v56, s10, v28
	v_add_f16_e32 v58, v58, v59
	v_fma_f16 v50, v56, s4, v50
	v_fma_f16 v28, v58, s6, v28
	;; [unrolled: 1-line block ×3, first 2 shown]
	v_add_f16_e32 v58, v49, v53
	v_fma_f16 v20, v58, -0.5, v20
	v_fma_f16 v58, v56, s5, v20
	v_sub_f16_e32 v49, v51, v49
	v_sub_f16_e32 v51, v52, v53
	v_fma_f16 v20, v56, s7, v20
	v_fma_f16 v58, v55, s10, v58
	v_add_f16_e32 v51, v49, v51
	v_fma_f16 v20, v55, s4, v20
	v_fma_f16 v49, v51, s6, v58
	;; [unrolled: 1-line block ×3, first 2 shown]
	s_waitcnt lgkmcnt(0)
	; wave barrier
	s_waitcnt lgkmcnt(0)
	ds_write_b16 v90, v95
	ds_write_b16 v90, v88 offset:16
	ds_write_b16 v90, v83 offset:32
	ds_write_b16 v90, v81 offset:48
	ds_write_b16 v90, v89 offset:64
	ds_write_b16 v91, v84
	ds_write_b16 v91, v80 offset:16
	ds_write_b16 v91, v75 offset:32
	ds_write_b16 v91, v73 offset:48
	ds_write_b16 v91, v82 offset:64
	;; [unrolled: 5-line block ×5, first 2 shown]
	s_waitcnt lgkmcnt(0)
	; wave barrier
	s_waitcnt lgkmcnt(0)
	ds_read_u16 v27, v10
	ds_read_u16 v54, v10 offset:400
	ds_read_u16 v55, v10 offset:512
	;; [unrolled: 1-line block ×7, first 2 shown]
	ds_read_u16 v20, v13
	ds_read_u16 v58, v10 offset:1200
	ds_read_u16 v80, v10 offset:1024
	ds_read_u16 v60, v10 offset:800
	ds_read_u16 v82, v10 offset:624
	ds_read_u16 v63, v10 offset:2112
	ds_read_u16 v74, v10 offset:2224
	ds_read_u16 v62, v10 offset:2000
	ds_read_u16 v81, v10 offset:1824
	ds_read_u16 v64, v10 offset:1600
	ds_read_u16 v83, v10 offset:1424
	ds_read_u16 v26, v12
	ds_read_u16 v79, v10 offset:2624
                                        ; implicit-def: $vgpr53
                                        ; implicit-def: $vgpr52
	s_and_saveexec_b64 s[2:3], s[0:1]
	s_cbranch_execz .LBB0_39
; %bb.38:
	ds_read_u16 v49, v10 offset:736
	ds_read_u16 v51, v10 offset:1136
	;; [unrolled: 1-line block ×5, first 2 shown]
	ds_read_u16 v28, v14
	ds_read_u16 v53, v10 offset:2736
.LBB0_39:
	s_or_b64 exec, exec, s[2:3]
	v_subrev_u32_e32 v66, 40, v4
	v_cmp_gt_u32_e64 s[2:3], 40, v4
	v_cndmask_b32_e64 v102, v66, v4, s[2:3]
	v_mul_i32_i24_e32 v66, 6, v102
	v_mov_b32_e32 v67, 0
	v_lshlrev_b64 v[66:67], 2, v[66:67]
	v_mov_b32_e32 v68, s9
	v_add_co_u32_e64 v66, s[2:3], s8, v66
	v_addc_co_u32_e64 v67, s[2:3], v68, v67, s[2:3]
	s_movk_i32 s2, 0xcd
	global_load_dwordx4 v[70:73], v[66:67], off offset:152
	global_load_dwordx2 v[77:78], v[66:67], off offset:168
	v_mul_lo_u16_sdwa v67, v9, s2 dst_sel:DWORD dst_unused:UNUSED_PAD src0_sel:BYTE_0 src1_sel:DWORD
	v_lshrrev_b16_e32 v103, 13, v67
	v_mul_lo_u16_e32 v67, 40, v103
	v_mul_lo_u16_sdwa v68, v6, s2 dst_sel:DWORD dst_unused:UNUSED_PAD src0_sel:BYTE_0 src1_sel:DWORD
	v_mov_b32_e32 v66, 6
	v_sub_u16_e32 v104, v9, v67
	v_lshrrev_b16_e32 v105, 13, v68
	v_mul_u32_u24_sdwa v67, v104, v66 dst_sel:DWORD dst_unused:UNUSED_PAD src0_sel:BYTE_0 src1_sel:DWORD
	v_mul_lo_u16_e32 v68, 40, v105
	v_lshlrev_b32_e32 v67, 2, v67
	v_sub_u16_e32 v106, v6, v68
	global_load_dwordx4 v[84:87], v67, s[8:9] offset:152
	global_load_dwordx2 v[96:97], v67, s[8:9] offset:168
	v_mul_u32_u24_sdwa v66, v106, v66 dst_sel:DWORD dst_unused:UNUSED_PAD src0_sel:BYTE_0 src1_sel:DWORD
	v_lshlrev_b32_e32 v66, 2, v66
	global_load_dwordx4 v[88:91], v66, s[8:9] offset:152
	global_load_dwordx2 v[98:99], v66, s[8:9] offset:168
	v_mul_lo_u16_sdwa v66, v7, s2 dst_sel:DWORD dst_unused:UNUSED_PAD src0_sel:BYTE_0 src1_sel:DWORD
	v_lshrrev_b16_e32 v66, 13, v66
	v_mul_lo_u16_e32 v66, 40, v66
	v_sub_u16_e32 v66, v7, v66
	v_and_b32_e32 v107, 0xff, v66
	v_mul_u32_u24_e32 v66, 6, v107
	v_lshlrev_b32_e32 v66, 2, v66
	global_load_dwordx4 v[92:95], v66, s[8:9] offset:152
	global_load_dwordx2 v[100:101], v66, s[8:9] offset:168
	s_movk_i32 s5, 0x2b26
	s_movk_i32 s4, 0x3b00
	s_mov_b32 s6, 0xbcab
	s_movk_i32 s7, 0x39e0
	s_mov_b32 s10, 0xb9e0
	;; [unrolled: 2-line block ×3, first 2 shown]
	s_movk_i32 s16, 0x370e
	v_cmp_lt_u32_e64 s[2:3], 39, v4
	s_waitcnt lgkmcnt(0)
	; wave barrier
	s_waitcnt vmcnt(7) lgkmcnt(0)
	v_mul_f16_sdwa v66, v54, v70 dst_sel:DWORD dst_unused:UNUSED_PAD src0_sel:DWORD src1_sel:WORD_1
	v_mul_f16_sdwa v67, v43, v70 dst_sel:DWORD dst_unused:UNUSED_PAD src0_sel:DWORD src1_sel:WORD_1
	;; [unrolled: 1-line block ×5, first 2 shown]
	s_waitcnt vmcnt(6)
	v_mul_f16_sdwa v111, v62, v77 dst_sel:DWORD dst_unused:UNUSED_PAD src0_sel:DWORD src1_sel:WORD_1
	v_mul_f16_sdwa v112, v47, v77 dst_sel:DWORD dst_unused:UNUSED_PAD src0_sel:DWORD src1_sel:WORD_1
	v_fma_f16 v66, v43, v70, -v66
	v_fma_f16 v69, v54, v70, v67
	v_fma_f16 v70, v60, v71, v75
	v_mul_f16_sdwa v108, v45, v72 dst_sel:DWORD dst_unused:UNUSED_PAD src0_sel:DWORD src1_sel:WORD_1
	v_mul_f16_sdwa v109, v64, v73 dst_sel:DWORD dst_unused:UNUSED_PAD src0_sel:DWORD src1_sel:WORD_1
	v_fma_f16 v67, v46, v71, -v68
	s_waitcnt vmcnt(5)
	v_mul_f16_sdwa v60, v61, v87 dst_sel:DWORD dst_unused:UNUSED_PAD src0_sel:DWORD src1_sel:WORD_1
	v_fma_f16 v68, v45, v72, -v76
	v_fma_f16 v75, v47, v77, -v111
	v_fma_f16 v76, v62, v77, v112
	v_mul_f16_sdwa v46, v38, v85 dst_sel:DWORD dst_unused:UNUSED_PAD src0_sel:DWORD src1_sel:WORD_1
	v_mul_f16_sdwa v47, v59, v86 dst_sel:DWORD dst_unused:UNUSED_PAD src0_sel:DWORD src1_sel:WORD_1
	;; [unrolled: 1-line block ×3, first 2 shown]
	v_fma_f16 v60, v36, v87, -v60
	s_waitcnt vmcnt(3)
	v_mul_f16_sdwa v36, v39, v88 dst_sel:DWORD dst_unused:UNUSED_PAD src0_sel:DWORD src1_sel:WORD_1
	v_mul_f16_sdwa v110, v48, v73 dst_sel:DWORD dst_unused:UNUSED_PAD src0_sel:DWORD src1_sel:WORD_1
	;; [unrolled: 1-line block ×3, first 2 shown]
	v_fma_f16 v71, v58, v72, v108
	v_fma_f16 v72, v48, v73, -v109
	v_mul_f16_sdwa v45, v56, v85 dst_sel:DWORD dst_unused:UNUSED_PAD src0_sel:DWORD src1_sel:WORD_1
	v_mul_f16_sdwa v48, v37, v86 dst_sel:DWORD dst_unused:UNUSED_PAD src0_sel:DWORD src1_sel:WORD_1
	v_fma_f16 v58, v56, v85, v46
	v_fma_f16 v56, v37, v86, -v47
	v_fma_f16 v37, v82, v88, v36
	v_mul_f16_sdwa v36, v80, v89 dst_sel:DWORD dst_unused:UNUSED_PAD src0_sel:DWORD src1_sel:WORD_1
	v_mul_f16_sdwa v114, v44, v78 dst_sel:DWORD dst_unused:UNUSED_PAD src0_sel:DWORD src1_sel:WORD_1
	v_fma_f16 v73, v64, v73, v110
	v_fma_f16 v77, v44, v78, -v113
	v_mul_f16_sdwa v44, v41, v84 dst_sel:DWORD dst_unused:UNUSED_PAD src0_sel:DWORD src1_sel:WORD_1
	v_mul_f16_sdwa v64, v63, v96 dst_sel:DWORD dst_unused:UNUSED_PAD src0_sel:DWORD src1_sel:WORD_1
	;; [unrolled: 1-line block ×4, first 2 shown]
	v_fma_f16 v36, v33, v89, -v36
	v_mul_f16_sdwa v33, v33, v89 dst_sel:DWORD dst_unused:UNUSED_PAD src0_sel:DWORD src1_sel:WORD_1
	v_fma_f16 v78, v57, v78, v114
	v_mul_f16_sdwa v43, v55, v84 dst_sel:DWORD dst_unused:UNUSED_PAD src0_sel:DWORD src1_sel:WORD_1
	v_mul_f16_sdwa v110, v35, v97 dst_sel:DWORD dst_unused:UNUSED_PAD src0_sel:DWORD src1_sel:WORD_1
	v_fma_f16 v57, v55, v84, v44
	v_fma_f16 v55, v38, v85, -v45
	v_fma_f16 v61, v61, v87, v62
	v_fma_f16 v62, v42, v96, -v64
	v_fma_f16 v64, v35, v97, -v109
	;; [unrolled: 1-line block ×3, first 2 shown]
	v_fma_f16 v39, v80, v89, v33
	v_mul_f16_sdwa v33, v83, v90 dst_sel:DWORD dst_unused:UNUSED_PAD src0_sel:DWORD src1_sel:WORD_1
	v_mul_f16_sdwa v38, v40, v90 dst_sel:DWORD dst_unused:UNUSED_PAD src0_sel:DWORD src1_sel:WORD_1
	v_fma_f16 v33, v40, v90, -v33
	v_fma_f16 v40, v83, v90, v38
	v_mul_f16_sdwa v38, v81, v91 dst_sel:DWORD dst_unused:UNUSED_PAD src0_sel:DWORD src1_sel:WORD_1
	v_fma_f16 v54, v41, v84, -v43
	v_fma_f16 v41, v34, v91, -v38
	s_waitcnt vmcnt(2)
	v_mul_f16_sdwa v38, v74, v98 dst_sel:DWORD dst_unused:UNUSED_PAD src0_sel:DWORD src1_sel:WORD_1
	v_mul_f16_sdwa v108, v42, v96 dst_sel:DWORD dst_unused:UNUSED_PAD src0_sel:DWORD src1_sel:WORD_1
	v_fma_f16 v42, v31, v98, -v38
	v_mul_f16_sdwa v38, v79, v99 dst_sel:DWORD dst_unused:UNUSED_PAD src0_sel:DWORD src1_sel:WORD_1
	v_fma_f16 v43, v32, v99, -v38
	s_waitcnt vmcnt(1)
	v_mul_f16_sdwa v38, v49, v92 dst_sel:DWORD dst_unused:UNUSED_PAD src0_sel:DWORD src1_sel:WORD_1
	v_fma_f16 v38, v22, v92, -v38
	v_mul_f16_sdwa v22, v22, v92 dst_sel:DWORD dst_unused:UNUSED_PAD src0_sel:DWORD src1_sel:WORD_1
	v_fma_f16 v45, v49, v92, v22
	v_mul_f16_sdwa v22, v51, v93 dst_sel:DWORD dst_unused:UNUSED_PAD src0_sel:DWORD src1_sel:WORD_1
	v_fma_f16 v44, v23, v93, -v22
	v_mul_f16_sdwa v22, v23, v93 dst_sel:DWORD dst_unused:UNUSED_PAD src0_sel:DWORD src1_sel:WORD_1
	v_fma_f16 v47, v51, v93, v22
	;; [unrolled: 4-line block ×3, first 2 shown]
	v_fma_f16 v48, v50, v94, v21
	v_mul_f16_sdwa v21, v17, v95 dst_sel:DWORD dst_unused:UNUSED_PAD src0_sel:DWORD src1_sel:WORD_1
	v_fma_f16 v49, v2, v95, -v21
	v_mul_f16_sdwa v2, v2, v95 dst_sel:DWORD dst_unused:UNUSED_PAD src0_sel:DWORD src1_sel:WORD_1
	v_fma_f16 v2, v17, v95, v2
	s_waitcnt vmcnt(0)
	v_mul_f16_sdwa v17, v52, v100 dst_sel:DWORD dst_unused:UNUSED_PAD src0_sel:DWORD src1_sel:WORD_1
	v_fma_f16 v50, v30, v100, -v17
	v_mul_f16_sdwa v17, v30, v100 dst_sel:DWORD dst_unused:UNUSED_PAD src0_sel:DWORD src1_sel:WORD_1
	v_fma_f16 v51, v52, v100, v17
	v_mul_f16_sdwa v17, v53, v101 dst_sel:DWORD dst_unused:UNUSED_PAD src0_sel:DWORD src1_sel:WORD_1
	v_fma_f16 v52, v29, v101, -v17
	v_mul_f16_sdwa v17, v29, v101 dst_sel:DWORD dst_unused:UNUSED_PAD src0_sel:DWORD src1_sel:WORD_1
	v_mul_f16_sdwa v31, v31, v98 dst_sel:DWORD dst_unused:UNUSED_PAD src0_sel:DWORD src1_sel:WORD_1
	v_fma_f16 v53, v53, v101, v17
	v_add_f16_e32 v17, v66, v77
	v_add_f16_e32 v22, v67, v75
	v_mul_f16_sdwa v34, v34, v91 dst_sel:DWORD dst_unused:UNUSED_PAD src0_sel:DWORD src1_sel:WORD_1
	v_fma_f16 v31, v74, v98, v31
	v_mul_f16_sdwa v32, v32, v99 dst_sel:DWORD dst_unused:UNUSED_PAD src0_sel:DWORD src1_sel:WORD_1
	v_sub_f16_e32 v21, v69, v78
	v_sub_f16_e32 v23, v70, v76
	v_add_f16_e32 v29, v68, v72
	v_sub_f16_e32 v30, v73, v71
	v_add_f16_e32 v74, v22, v17
	v_fma_f16 v34, v81, v91, v34
	v_fma_f16 v32, v79, v99, v32
	v_sub_f16_e32 v79, v22, v17
	v_sub_f16_e32 v17, v17, v29
	;; [unrolled: 1-line block ×3, first 2 shown]
	v_add_f16_e32 v80, v30, v23
	v_sub_f16_e32 v81, v30, v23
	v_sub_f16_e32 v23, v23, v21
	v_add_f16_e32 v29, v29, v74
	v_sub_f16_e32 v30, v21, v30
	v_add_f16_e32 v21, v80, v21
	v_add_f16_e32 v25, v25, v29
	v_mul_f16_e32 v17, 0x3a52, v17
	v_mul_f16_e32 v74, 0x2b26, v22
	v_mul_f16_e32 v80, 0xb846, v81
	v_mul_f16_e32 v81, 0x3b00, v23
	v_fma_f16 v29, v29, s6, v25
	v_fma_f16 v22, v22, s5, v17
	v_fma_f16 v74, v79, s7, -v74
	v_fma_f16 v17, v79, s10, -v17
	v_fma_f16 v79, v30, s11, v80
	v_fma_f16 v23, v23, s4, -v80
	v_fma_f16 v30, v30, s17, -v81
	v_add_f16_e32 v22, v22, v29
	v_add_f16_e32 v74, v74, v29
	;; [unrolled: 1-line block ×3, first 2 shown]
	v_fma_f16 v29, v21, s16, v79
	v_fma_f16 v23, v21, s16, v23
	;; [unrolled: 1-line block ×5, first 2 shown]
	v_add_f16_e32 v30, v29, v22
	v_add_f16_e32 v80, v21, v17
	v_sub_f16_e32 v81, v74, v23
	v_add_f16_e32 v23, v23, v74
	v_sub_f16_e32 v17, v17, v21
	v_sub_f16_e32 v21, v22, v29
	v_add_f16_e32 v22, v54, v64
	v_add_f16_e32 v74, v55, v62
	v_sub_f16_e32 v29, v57, v65
	v_sub_f16_e32 v79, v58, v63
	v_add_f16_e32 v82, v56, v60
	v_sub_f16_e32 v83, v61, v59
	v_add_f16_e32 v84, v74, v22
	v_sub_f16_e32 v85, v74, v22
	v_sub_f16_e32 v22, v22, v82
	;; [unrolled: 1-line block ×3, first 2 shown]
	v_add_f16_e32 v86, v83, v79
	v_sub_f16_e32 v87, v83, v79
	v_sub_f16_e32 v79, v79, v29
	v_add_f16_e32 v82, v82, v84
	v_sub_f16_e32 v83, v29, v83
	v_add_f16_e32 v29, v86, v29
	v_add_f16_e32 v24, v24, v82
	v_mul_f16_e32 v22, 0x3a52, v22
	v_mul_f16_e32 v84, 0x2b26, v74
	;; [unrolled: 1-line block ×4, first 2 shown]
	v_fma_f16 v82, v82, s6, v24
	v_fma_f16 v74, v74, s5, v22
	v_fma_f16 v84, v85, s7, -v84
	v_fma_f16 v22, v85, s10, -v22
	v_fma_f16 v85, v83, s11, v86
	v_fma_f16 v79, v79, s4, -v86
	v_fma_f16 v83, v83, s17, -v87
	v_add_f16_e32 v74, v74, v82
	v_add_f16_e32 v84, v84, v82
	;; [unrolled: 1-line block ×3, first 2 shown]
	v_fma_f16 v82, v29, s16, v85
	v_fma_f16 v79, v29, s16, v79
	;; [unrolled: 1-line block ×3, first 2 shown]
	v_add_f16_e32 v83, v82, v74
	v_add_f16_e32 v85, v29, v22
	v_sub_f16_e32 v22, v22, v29
	v_sub_f16_e32 v29, v74, v82
	v_add_f16_e32 v74, v35, v43
	v_add_f16_e32 v82, v36, v42
	v_sub_f16_e32 v86, v84, v79
	v_add_f16_e32 v84, v79, v84
	v_sub_f16_e32 v79, v37, v32
	v_sub_f16_e32 v87, v39, v31
	v_add_f16_e32 v88, v33, v41
	v_sub_f16_e32 v89, v34, v40
	v_add_f16_e32 v90, v82, v74
	v_sub_f16_e32 v91, v82, v74
	v_sub_f16_e32 v74, v74, v88
	v_sub_f16_e32 v82, v88, v82
	v_add_f16_e32 v92, v89, v87
	v_sub_f16_e32 v93, v89, v87
	v_sub_f16_e32 v87, v87, v79
	v_add_f16_e32 v88, v88, v90
	v_sub_f16_e32 v89, v79, v89
	v_add_f16_e32 v79, v92, v79
	v_add_f16_e32 v19, v19, v88
	v_mul_f16_e32 v74, 0x3a52, v74
	v_mul_f16_e32 v90, 0x2b26, v82
	v_mul_f16_e32 v92, 0xb846, v93
	v_mul_f16_e32 v93, 0x3b00, v87
	v_fma_f16 v88, v88, s6, v19
	v_fma_f16 v82, v82, s5, v74
	v_fma_f16 v90, v91, s7, -v90
	v_fma_f16 v74, v91, s10, -v74
	v_fma_f16 v91, v89, s11, v92
	v_fma_f16 v87, v87, s4, -v92
	v_fma_f16 v89, v89, s17, -v93
	v_add_f16_e32 v82, v82, v88
	v_add_f16_e32 v90, v90, v88
	;; [unrolled: 1-line block ×3, first 2 shown]
	v_fma_f16 v88, v79, s16, v91
	v_fma_f16 v87, v79, s16, v87
	;; [unrolled: 1-line block ×3, first 2 shown]
	v_add_f16_e32 v91, v79, v74
	v_sub_f16_e32 v74, v74, v79
	v_mov_b32_e32 v79, 0x230
	v_add_f16_e32 v89, v88, v82
	v_sub_f16_e32 v82, v82, v88
	v_cndmask_b32_e64 v79, 0, v79, s[2:3]
	v_lshlrev_b32_e32 v88, 1, v102
	v_add3_u32 v79, 0, v79, v88
	ds_write_b16 v79, v25
	ds_write_b16 v79, v30 offset:80
	ds_write_b16 v79, v80 offset:160
	ds_write_b16 v79, v81 offset:240
	ds_write_b16 v79, v23 offset:320
	ds_write_b16 v79, v17 offset:400
	ds_write_b16 v79, v21 offset:480
	v_mov_b32_e32 v21, 1
	v_mul_u32_u24_e32 v17, 0x230, v103
	v_lshlrev_b32_sdwa v23, v21, v104 dst_sel:DWORD dst_unused:UNUSED_PAD src0_sel:DWORD src1_sel:BYTE_0
	v_add3_u32 v80, 0, v17, v23
	v_mul_u32_u24_e32 v17, 0x230, v105
	v_lshlrev_b32_sdwa v21, v21, v106 dst_sel:DWORD dst_unused:UNUSED_PAD src0_sel:DWORD src1_sel:BYTE_0
	v_add3_u32 v81, 0, v17, v21
	v_sub_f16_e32 v92, v90, v87
	v_add_f16_e32 v87, v87, v90
	ds_write_b16 v80, v24
	ds_write_b16 v80, v83 offset:80
	ds_write_b16 v80, v85 offset:160
	;; [unrolled: 1-line block ×6, first 2 shown]
	ds_write_b16 v81, v19
	ds_write_b16 v81, v89 offset:80
	ds_write_b16 v81, v91 offset:160
	;; [unrolled: 1-line block ×6, first 2 shown]
	v_lshl_add_u32 v74, v107, 1, 0
	s_and_saveexec_b64 s[2:3], s[0:1]
	s_cbranch_execz .LBB0_41
; %bb.40:
	v_add_f16_e32 v17, v38, v52
	v_add_f16_e32 v22, v44, v50
	;; [unrolled: 1-line block ×4, first 2 shown]
	v_sub_f16_e32 v21, v17, v19
	v_sub_f16_e32 v23, v19, v22
	v_add_f16_e32 v19, v19, v25
	v_sub_f16_e32 v25, v45, v53
	v_sub_f16_e32 v29, v2, v48
	;; [unrolled: 1-line block ×5, first 2 shown]
	v_add_f16_e32 v29, v29, v82
	v_sub_f16_e32 v17, v22, v17
	v_sub_f16_e32 v22, v82, v25
	v_mul_f16_e32 v21, 0x3a52, v21
	v_mul_f16_e32 v24, 0x2b26, v23
	v_add_f16_e32 v18, v18, v19
	v_mul_f16_e32 v83, 0xb846, v83
	v_add_f16_e32 v29, v29, v25
	v_mul_f16_e32 v25, 0x3b00, v22
	v_fma_f16 v23, v23, s5, v21
	v_fma_f16 v19, v19, s6, v18
	;; [unrolled: 1-line block ×3, first 2 shown]
	v_fma_f16 v21, v17, s10, -v21
	v_fma_f16 v25, v30, s17, -v25
	;; [unrolled: 1-line block ×4, first 2 shown]
	v_add_f16_e32 v23, v23, v19
	v_fma_f16 v84, v29, s16, v84
	v_add_f16_e32 v21, v21, v19
	v_fma_f16 v25, v29, s16, v25
	v_fma_f16 v22, v29, s16, v22
	v_add_f16_e32 v17, v17, v19
	v_sub_f16_e32 v85, v23, v84
	v_sub_f16_e32 v30, v21, v25
	v_add_f16_e32 v19, v22, v17
	v_sub_f16_e32 v17, v17, v22
	v_add_f16_e32 v21, v25, v21
	v_add_f16_e32 v22, v84, v23
	ds_write_b16 v74, v18 offset:2240
	ds_write_b16 v74, v22 offset:2320
	;; [unrolled: 1-line block ×7, first 2 shown]
.LBB0_41:
	s_or_b64 exec, exec, s[2:3]
	v_add_f16_e32 v17, v69, v78
	v_add_f16_e32 v19, v70, v76
	v_sub_f16_e32 v18, v66, v77
	v_sub_f16_e32 v21, v67, v75
	v_add_f16_e32 v22, v71, v73
	v_sub_f16_e32 v23, v72, v68
	v_add_f16_e32 v24, v19, v17
	v_sub_f16_e32 v25, v19, v17
	v_sub_f16_e32 v17, v17, v22
	v_sub_f16_e32 v19, v22, v19
	v_add_f16_e32 v29, v23, v21
	v_sub_f16_e32 v30, v23, v21
	v_sub_f16_e32 v21, v21, v18
	v_add_f16_e32 v22, v22, v24
	v_sub_f16_e32 v23, v18, v23
	v_add_f16_e32 v18, v29, v18
	v_add_f16_e32 v66, v27, v22
	v_mul_f16_e32 v17, 0x3a52, v17
	v_mul_f16_e32 v24, 0x2b26, v19
	;; [unrolled: 1-line block ×4, first 2 shown]
	v_fma_f16 v22, v22, s6, v66
	v_fma_f16 v19, v19, s5, v17
	v_fma_f16 v24, v25, s7, -v24
	v_fma_f16 v17, v25, s10, -v17
	v_fma_f16 v25, v23, s11, v27
	v_fma_f16 v21, v21, s4, -v27
	v_fma_f16 v23, v23, s17, -v29
	v_add_f16_e32 v19, v19, v22
	v_add_f16_e32 v24, v24, v22
	;; [unrolled: 1-line block ×3, first 2 shown]
	v_fma_f16 v22, v18, s16, v25
	v_fma_f16 v21, v18, s16, v21
	;; [unrolled: 1-line block ×3, first 2 shown]
	v_sub_f16_e32 v67, v19, v22
	v_sub_f16_e32 v68, v17, v18
	v_add_f16_e32 v71, v18, v17
	v_add_f16_e32 v72, v22, v19
	;; [unrolled: 1-line block ×5, first 2 shown]
	v_sub_f16_e32 v70, v24, v21
	v_sub_f16_e32 v18, v54, v64
	v_sub_f16_e32 v21, v55, v62
	v_add_f16_e32 v22, v59, v61
	v_sub_f16_e32 v23, v60, v56
	v_add_f16_e32 v24, v19, v17
	v_sub_f16_e32 v25, v19, v17
	v_sub_f16_e32 v17, v17, v22
	;; [unrolled: 1-line block ×3, first 2 shown]
	v_add_f16_e32 v27, v23, v21
	v_sub_f16_e32 v29, v23, v21
	v_sub_f16_e32 v21, v21, v18
	v_add_f16_e32 v22, v22, v24
	v_sub_f16_e32 v23, v18, v23
	v_add_f16_e32 v18, v27, v18
	v_add_f16_e32 v54, v26, v22
	v_mul_f16_e32 v17, 0x3a52, v17
	v_mul_f16_e32 v24, 0x2b26, v19
	;; [unrolled: 1-line block ×4, first 2 shown]
	v_fma_f16 v22, v22, s6, v54
	v_fma_f16 v19, v19, s5, v17
	v_fma_f16 v24, v25, s7, -v24
	v_fma_f16 v17, v25, s10, -v17
	v_fma_f16 v25, v23, s11, v26
	v_fma_f16 v21, v21, s4, -v26
	v_fma_f16 v23, v23, s17, -v27
	v_add_f16_e32 v19, v19, v22
	v_add_f16_e32 v24, v24, v22
	;; [unrolled: 1-line block ×3, first 2 shown]
	v_fma_f16 v22, v18, s16, v25
	v_fma_f16 v21, v18, s16, v21
	;; [unrolled: 1-line block ×3, first 2 shown]
	v_sub_f16_e32 v55, v19, v22
	v_sub_f16_e32 v56, v17, v18
	v_add_f16_e32 v59, v18, v17
	v_add_f16_e32 v60, v22, v19
	;; [unrolled: 1-line block ×5, first 2 shown]
	v_sub_f16_e32 v58, v24, v21
	v_sub_f16_e32 v18, v35, v43
	;; [unrolled: 1-line block ×3, first 2 shown]
	v_add_f16_e32 v22, v40, v34
	v_sub_f16_e32 v23, v41, v33
	v_add_f16_e32 v24, v19, v17
	v_sub_f16_e32 v25, v19, v17
	v_sub_f16_e32 v17, v17, v22
	;; [unrolled: 1-line block ×3, first 2 shown]
	v_add_f16_e32 v26, v23, v21
	v_sub_f16_e32 v27, v23, v21
	v_sub_f16_e32 v21, v21, v18
	v_add_f16_e32 v22, v22, v24
	v_sub_f16_e32 v23, v18, v23
	v_add_f16_e32 v18, v26, v18
	v_add_f16_e32 v61, v20, v22
	v_mul_f16_e32 v17, 0x3a52, v17
	v_mul_f16_e32 v20, 0x2b26, v19
	v_mul_f16_e32 v24, 0xb846, v27
	v_mul_f16_e32 v26, 0x3b00, v21
	v_fma_f16 v22, v22, s6, v61
	v_fma_f16 v19, v19, s5, v17
	v_fma_f16 v20, v25, s7, -v20
	v_fma_f16 v17, v25, s10, -v17
	v_fma_f16 v25, v23, s11, v24
	v_fma_f16 v21, v21, s4, -v24
	v_fma_f16 v23, v23, s17, -v26
	v_add_f16_e32 v19, v19, v22
	v_add_f16_e32 v20, v20, v22
	v_add_f16_e32 v17, v17, v22
	v_fma_f16 v22, v18, s16, v25
	v_fma_f16 v21, v18, s16, v21
	v_fma_f16 v18, v18, s16, v23
	v_sub_f16_e32 v62, v19, v22
	v_sub_f16_e32 v63, v17, v18
	v_add_f16_e32 v64, v21, v20
	v_sub_f16_e32 v65, v20, v21
	v_add_f16_e32 v73, v18, v17
	v_add_f16_e32 v75, v22, v19
	s_waitcnt lgkmcnt(0)
	; wave barrier
	s_waitcnt lgkmcnt(0)
	ds_read_u16 v18, v11
	ds_read_u16 v23, v10 offset:2352
	ds_read_u16 v27, v13
	ds_read_u16 v36, v14
	;; [unrolled: 1-line block ×3, first 2 shown]
	ds_read_u16 v24, v10 offset:672
	ds_read_u16 v32, v10 offset:784
	;; [unrolled: 1-line block ×10, first 2 shown]
	ds_read_u16 v19, v16
	ds_read_u16 v31, v15
	ds_read_u16 v26, v10 offset:1232
	ds_read_u16 v29, v10 offset:1008
	ds_read_u16 v20, v10 offset:2240
	ds_read_u16 v30, v10 offset:2128
	ds_read_u16 v21, v10 offset:1680
	ds_read_u16 v43, v10 offset:1568
	ds_read_u16 v22, v12
	ds_read_u16 v42, v10 offset:2688
	s_waitcnt lgkmcnt(0)
	; wave barrier
	s_waitcnt lgkmcnt(0)
	ds_write_b16 v79, v66
	ds_write_b16 v79, v67 offset:80
	ds_write_b16 v79, v68 offset:160
	ds_write_b16 v79, v69 offset:240
	ds_write_b16 v79, v70 offset:320
	ds_write_b16 v79, v71 offset:400
	ds_write_b16 v79, v72 offset:480
	ds_write_b16 v80, v54
	ds_write_b16 v80, v55 offset:80
	ds_write_b16 v80, v56 offset:160
	ds_write_b16 v80, v57 offset:240
	ds_write_b16 v80, v58 offset:320
	ds_write_b16 v80, v59 offset:400
	ds_write_b16 v80, v60 offset:480
	;; [unrolled: 7-line block ×3, first 2 shown]
	s_and_saveexec_b64 s[2:3], s[0:1]
	s_cbranch_execz .LBB0_43
; %bb.42:
	v_add_f16_e32 v45, v45, v53
	v_add_f16_e32 v47, v47, v51
	v_add_f16_e32 v2, v48, v2
	v_sub_f16_e32 v46, v49, v46
	v_add_f16_e32 v48, v47, v45
	v_sub_f16_e32 v49, v47, v45
	v_sub_f16_e32 v45, v45, v2
	;; [unrolled: 1-line block ×3, first 2 shown]
	v_mul_f16_e32 v45, 0x3a52, v45
	s_movk_i32 s0, 0x2b26
	v_sub_f16_e32 v44, v44, v50
	v_add_f16_e32 v2, v2, v48
	v_mul_f16_e32 v48, 0x2b26, v47
	v_fma_f16 v47, v47, s0, v45
	s_movk_i32 s0, 0x39e0
	v_sub_f16_e32 v38, v38, v52
	v_add_f16_e32 v50, v46, v44
	v_sub_f16_e32 v51, v46, v44
	v_fma_f16 v48, v49, s0, -v48
	s_mov_b32 s0, 0xb9e0
	v_sub_f16_e32 v46, v38, v46
	v_sub_f16_e32 v44, v44, v38
	v_add_f16_e32 v38, v50, v38
	v_mul_f16_e32 v50, 0xb846, v51
	v_fma_f16 v45, v49, s0, -v45
	s_movk_i32 s0, 0x3574
	v_add_f16_e32 v28, v28, v2
	s_movk_i32 s1, 0x3b00
	v_mul_f16_e32 v51, 0x3b00, v44
	s_mov_b32 s4, 0xbcab
	v_fma_f16 v49, v46, s0, v50
	s_mov_b32 s0, 0xb574
	v_fma_f16 v2, v2, s4, v28
	v_fma_f16 v44, v44, s1, -v50
	v_fma_f16 v46, v46, s0, -v51
	s_movk_i32 s0, 0x370e
	v_add_f16_e32 v47, v47, v2
	v_add_f16_e32 v48, v48, v2
	v_add_f16_e32 v2, v45, v2
	v_fma_f16 v45, v38, s0, v49
	v_fma_f16 v44, v38, s0, v44
	;; [unrolled: 1-line block ×3, first 2 shown]
	v_sub_f16_e32 v46, v47, v45
	v_sub_f16_e32 v49, v2, v38
	v_add_f16_e32 v50, v44, v48
	v_sub_f16_e32 v44, v48, v44
	v_add_f16_e32 v2, v38, v2
	v_add_f16_e32 v38, v45, v47
	ds_write_b16 v74, v28 offset:2240
	ds_write_b16 v74, v46 offset:2320
	;; [unrolled: 1-line block ×7, first 2 shown]
.LBB0_43:
	s_or_b64 exec, exec, s[2:3]
	s_waitcnt lgkmcnt(0)
	; wave barrier
	s_waitcnt lgkmcnt(0)
	s_and_saveexec_b64 s[0:1], vcc
	s_cbranch_execz .LBB0_45
; %bb.44:
	v_lshlrev_b32_e32 v2, 2, v3
	v_mov_b32_e32 v3, 0
	v_lshlrev_b64 v[44:45], 2, v[2:3]
	v_mov_b32_e32 v38, s9
	v_add_co_u32_e32 v44, vcc, s8, v44
	v_addc_co_u32_e32 v45, vcc, v38, v45, vcc
	global_load_dwordx4 v[44:47], v[44:45], off offset:1112
	v_lshlrev_b32_e32 v2, 2, v7
	ds_read_u16 v28, v10 offset:1568
	ds_read_u16 v56, v16
	ds_read_u16 v52, v15
	;; [unrolled: 1-line block ×5, first 2 shown]
	ds_read_u16 v14, v10 offset:2688
	ds_read_u16 v60, v10 offset:2576
	;; [unrolled: 1-line block ×7, first 2 shown]
	v_lshlrev_b64 v[12:13], 2, v[2:3]
	s_movk_i32 s0, 0x3b9c
	v_add_co_u32_e32 v12, vcc, s8, v12
	v_addc_co_u32_e32 v13, vcc, v38, v13, vcc
	global_load_dwordx4 v[48:51], v[12:13], off offset:1112
	ds_read_u16 v2, v10 offset:2128
	ds_read_u16 v66, v10 offset:2016
	;; [unrolled: 1-line block ×7, first 2 shown]
	s_mov_b32 s3, 0xbb9c
	s_movk_i32 s1, 0x38b4
	s_movk_i32 s2, 0x34f2
	s_mov_b32 s4, 0xb8b4
	s_waitcnt vmcnt(1)
	v_lshrrev_b32_e32 v7, 16, v44
	v_lshrrev_b32_e32 v13, 16, v45
	;; [unrolled: 1-line block ×4, first 2 shown]
	s_waitcnt lgkmcnt(1)
	v_mul_f16_e32 v53, v44, v12
	v_mul_f16_e32 v54, v45, v28
	;; [unrolled: 1-line block ×4, first 2 shown]
	v_fma_f16 v53, v29, v7, v53
	v_fma_f16 v54, v43, v13, v54
	;; [unrolled: 1-line block ×4, first 2 shown]
	v_mul_f16_e32 v13, v13, v28
	v_mul_f16_e32 v2, v15, v2
	;; [unrolled: 1-line block ×4, first 2 shown]
	v_sub_f16_e32 v14, v53, v54
	v_sub_f16_e32 v15, v55, v71
	v_fma_f16 v43, v43, v45, -v13
	v_fma_f16 v2, v30, v46, -v2
	;; [unrolled: 1-line block ×4, first 2 shown]
	v_add_f16_e32 v7, v54, v71
	v_add_f16_e32 v16, v53, v55
	v_sub_f16_e32 v12, v54, v53
	v_sub_f16_e32 v13, v71, v55
	v_add_f16_e32 v28, v14, v15
	v_sub_f16_e32 v45, v43, v2
	v_sub_f16_e32 v46, v44, v42
	v_fma_f16 v47, v7, -0.5, v52
	v_sub_f16_e32 v7, v44, v43
	v_sub_f16_e32 v14, v42, v2
	v_add_f16_e32 v15, v43, v2
	v_fma_f16 v16, v16, -0.5, v52
	v_sub_f16_e32 v29, v53, v55
	v_add_f16_e32 v72, v12, v13
	v_sub_f16_e32 v12, v43, v44
	v_sub_f16_e32 v13, v2, v42
	v_fma_f16 v73, v46, s0, v47
	v_add_f16_e32 v74, v7, v14
	v_fma_f16 v75, v15, -0.5, v31
	v_fma_f16 v7, v45, s3, v16
	v_sub_f16_e32 v30, v54, v71
	v_add_f16_e32 v76, v12, v13
	v_fma_f16 v12, v45, s1, v73
	v_fma_f16 v13, v29, s3, v75
	;; [unrolled: 1-line block ×6, first 2 shown]
	v_add_f16_e32 v14, v44, v42
	v_fma_f16 v73, v14, -0.5, v31
	v_add_f16_e32 v31, v31, v44
	v_add_f16_e32 v31, v31, v43
	;; [unrolled: 1-line block ×3, first 2 shown]
	v_fma_f16 v14, v30, s0, v73
	v_fma_f16 v15, v45, s0, v16
	;; [unrolled: 1-line block ×3, first 2 shown]
	v_add_f16_e32 v31, v42, v2
	v_lshlrev_b32_e32 v2, 2, v6
	v_fma_f16 v14, v29, s4, v14
	v_fma_f16 v16, v29, s1, v16
	;; [unrolled: 1-line block ×3, first 2 shown]
	v_lshlrev_b64 v[42:43], 2, v[2:3]
	v_fma_f16 v29, v30, s1, v29
	v_add_f16_e32 v30, v53, v52
	v_add_f16_e32 v30, v54, v30
	v_add_co_u32_e32 v42, vcc, s8, v42
	v_add_f16_e32 v30, v71, v30
	ds_read_u16 v71, v10 offset:784
	v_addc_co_u32_e32 v43, vcc, v38, v43, vcc
	v_add_f16_e32 v30, v55, v30
	global_load_dwordx4 v[52:55], v[42:43], off offset:1112
	v_fma_f16 v15, v46, s4, v15
	v_fma_f16 v46, v46, s3, v47
	;; [unrolled: 1-line block ×3, first 2 shown]
	s_waitcnt vmcnt(1)
	v_lshrrev_b32_e32 v47, 16, v51
	v_mul_f16_e32 v42, v51, v60
	v_fma_f16 v12, v74, s2, v12
	v_fma_f16 v15, v72, s2, v15
	;; [unrolled: 1-line block ×4, first 2 shown]
	v_lshrrev_b32_e32 v44, 16, v48
	v_lshrrev_b32_e32 v45, 16, v49
	;; [unrolled: 1-line block ×3, first 2 shown]
	s_waitcnt lgkmcnt(1)
	v_mul_f16_e32 v72, v48, v70
	v_mul_f16_e32 v6, v49, v61
	v_fma_f16 v74, v39, v47, v42
	v_mul_f16_e32 v42, v50, v66
	v_fma_f16 v2, v37, v44, v72
	v_fma_f16 v72, v40, v45, v6
	;; [unrolled: 1-line block ×3, first 2 shown]
	v_sub_f16_e32 v6, v2, v72
	v_sub_f16_e32 v42, v74, v75
	v_add_f16_e32 v43, v6, v42
	v_mul_f16_e32 v6, v45, v61
	v_fma_f16 v49, v40, v49, -v6
	v_mul_f16_e32 v6, v46, v66
	v_fma_f16 v46, v41, v50, -v6
	;; [unrolled: 2-line block ×4, first 2 shown]
	v_sub_f16_e32 v37, v48, v49
	v_sub_f16_e32 v39, v47, v46
	v_add_f16_e32 v51, v37, v39
	v_sub_f16_e32 v39, v72, v2
	v_sub_f16_e32 v40, v75, v74
	v_add_f16_e32 v41, v39, v40
	v_add_f16_e32 v39, v2, v74
	v_sub_f16_e32 v45, v49, v46
	v_add_f16_e32 v6, v72, v75
	v_sub_f16_e32 v61, v2, v74
	v_fma_f16 v42, v39, -0.5, v57
	v_add_f16_e32 v2, v2, v57
	v_sub_f16_e32 v44, v48, v47
	v_fma_f16 v50, v6, -0.5, v57
	ds_read_u16 v57, v10 offset:672
	v_fma_f16 v39, v45, s3, v42
	v_fma_f16 v42, v45, s0, v42
	v_add_f16_e32 v2, v72, v2
	v_fma_f16 v6, v44, s0, v50
	v_fma_f16 v39, v44, s1, v39
	;; [unrolled: 1-line block ×4, first 2 shown]
	v_add_f16_e32 v2, v75, v2
	v_fma_f16 v6, v45, s1, v6
	v_fma_f16 v44, v45, s4, v44
	v_add_f16_e32 v45, v74, v2
	v_add_f16_e32 v2, v36, v48
	v_sub_f16_e32 v40, v49, v48
	v_sub_f16_e32 v70, v46, v47
	v_add_f16_e32 v2, v2, v49
	ds_read_u16 v73, v10 offset:2464
	v_add_f16_e32 v37, v49, v46
	v_add_f16_e32 v70, v40, v70
	;; [unrolled: 1-line block ×4, first 2 shown]
	v_fma_f16 v14, v76, s2, v14
	v_fma_f16 v16, v76, s2, v16
	v_fma_f16 v60, v37, -0.5, v36
	v_fma_f16 v76, v40, -0.5, v36
	v_add_f16_e32 v36, v47, v2
	v_lshlrev_b32_e32 v2, 2, v9
	v_fma_f16 v6, v43, s2, v6
	v_fma_f16 v37, v61, s3, v60
	v_sub_f16_e32 v66, v72, v75
	v_fma_f16 v43, v43, s2, v44
	v_fma_f16 v44, v61, s0, v60
	v_lshlrev_b64 v[46:47], 2, v[2:3]
	v_fma_f16 v37, v66, s4, v37
	v_fma_f16 v39, v41, s2, v39
	;; [unrolled: 1-line block ×6, first 2 shown]
	s_waitcnt vmcnt(0)
	v_lshrrev_b32_e32 v2, 16, v52
	s_waitcnt lgkmcnt(2)
	v_mul_f16_e32 v60, v52, v71
	v_fma_f16 v37, v51, s2, v37
	v_fma_f16 v40, v61, s4, v40
	;; [unrolled: 1-line block ×4, first 2 shown]
	v_add_co_u32_e32 v46, vcc, s8, v46
	v_lshrrev_b32_e32 v9, 16, v53
	v_lshrrev_b32_e32 v50, 16, v54
	;; [unrolled: 1-line block ×3, first 2 shown]
	v_fma_f16 v60, v32, v2, v60
	v_mul_f16_e32 v61, v53, v62
	v_mul_f16_e32 v72, v54, v67
	;; [unrolled: 1-line block ×3, first 2 shown]
	v_fma_f16 v40, v70, s2, v40
	v_fma_f16 v42, v70, s2, v42
	v_addc_co_u32_e32 v47, vcc, v38, v47, vcc
	v_fma_f16 v61, v34, v9, v61
	s_waitcnt lgkmcnt(0)
	v_mul_f16_e32 v70, v55, v73
	v_fma_f16 v72, v35, v50, v72
	v_mul_f16_e32 v9, v9, v62
	v_fma_f16 v2, v32, v52, -v2
	v_mul_f16_e32 v32, v51, v73
	global_load_dwordx4 v[46:49], v[46:47], off offset:1112
	v_fma_f16 v70, v33, v51, v70
	v_fma_f16 v9, v34, v53, -v9
	v_mul_f16_e32 v34, v50, v67
	v_fma_f16 v51, v33, v55, -v32
	v_add_f16_e32 v33, v61, v72
	v_fma_f16 v50, v35, v54, -v34
	v_sub_f16_e32 v32, v2, v51
	v_fma_f16 v33, v33, -0.5, v58
	v_sub_f16_e32 v67, v61, v60
	v_sub_f16_e32 v71, v72, v70
	;; [unrolled: 1-line block ×5, first 2 shown]
	v_fma_f16 v35, v32, s0, v33
	v_add_f16_e32 v67, v67, v71
	v_add_f16_e32 v71, v60, v70
	;; [unrolled: 1-line block ×3, first 2 shown]
	v_fma_f16 v35, v34, s1, v35
	v_fma_f16 v71, v71, -0.5, v58
	v_fma_f16 v52, v66, s2, v35
	v_sub_f16_e32 v35, v2, v9
	v_sub_f16_e32 v53, v51, v50
	v_fma_f16 v73, v34, s3, v71
	v_fma_f16 v71, v34, s0, v71
	v_add_f16_e32 v35, v35, v53
	v_add_f16_e32 v53, v9, v50
	v_fma_f16 v73, v32, s1, v73
	v_sub_f16_e32 v74, v9, v2
	v_sub_f16_e32 v75, v50, v51
	v_fma_f16 v71, v32, s4, v71
	v_fma_f16 v32, v32, s3, v33
	v_fma_f16 v53, v53, -0.5, v27
	v_sub_f16_e32 v54, v60, v70
	v_add_f16_e32 v74, v74, v75
	v_add_f16_e32 v75, v2, v51
	v_fma_f16 v32, v34, s4, v32
	v_add_f16_e32 v2, v27, v2
	v_sub_f16_e32 v62, v61, v72
	v_fma_f16 v66, v66, s2, v32
	v_fma_f16 v32, v54, s0, v53
	v_add_f16_e32 v9, v2, v9
	v_lshlrev_b32_e32 v2, 2, v4
	v_fma_f16 v32, v62, s1, v32
	v_lshlrev_b64 v[2:3], 2, v[2:3]
	v_fma_f16 v55, v54, s3, v53
	v_fma_f16 v53, v35, s2, v32
	v_add_f16_e32 v32, v60, v58
	v_fma_f16 v75, v75, -0.5, v27
	v_add_f16_e32 v32, v61, v32
	v_add_co_u32_e32 v2, vcc, s8, v2
	v_fma_f16 v55, v62, s4, v55
	v_fma_f16 v73, v67, s2, v73
	v_fma_f16 v76, v62, s0, v75
	v_fma_f16 v67, v67, s2, v71
	v_fma_f16 v71, v62, s3, v75
	v_add_f16_e32 v32, v72, v32
	v_addc_co_u32_e32 v3, vcc, v38, v3, vcc
	v_fma_f16 v55, v35, s2, v55
	v_fma_f16 v76, v54, s4, v76
	;; [unrolled: 1-line block ×3, first 2 shown]
	v_add_f16_e32 v54, v70, v32
	global_load_dwordx4 v[32:35], v[2:3], off offset:1112
	v_add_f16_e32 v2, v9, v50
	v_add_f16_e32 v27, v51, v2
	ds_read_u16 v10, v10
	v_fma_f16 v76, v74, s2, v76
	v_fma_f16 v71, v74, s2, v71
	s_waitcnt vmcnt(1)
	v_lshrrev_b32_e32 v2, 16, v46
	v_mul_f16_e32 v50, v46, v57
	v_lshrrev_b32_e32 v3, 16, v47
	v_lshrrev_b32_e32 v9, 16, v48
	v_lshrrev_b32_e32 v38, 16, v49
	v_fma_f16 v50, v24, v2, v50
	v_mul_f16_e32 v51, v47, v63
	v_mul_f16_e32 v61, v48, v68
	;; [unrolled: 1-line block ×3, first 2 shown]
	v_fma_f16 v51, v26, v3, v51
	v_mul_f16_e32 v60, v49, v64
	v_fma_f16 v61, v25, v9, v61
	v_mul_f16_e32 v3, v3, v63
	v_mul_f16_e32 v9, v9, v68
	v_fma_f16 v2, v24, v46, -v2
	v_mul_f16_e32 v24, v38, v64
	v_fma_f16 v60, v23, v38, v60
	v_fma_f16 v3, v26, v47, -v3
	v_fma_f16 v9, v25, v48, -v9
	v_fma_f16 v23, v23, v49, -v24
	v_sub_f16_e32 v58, v50, v51
	v_sub_f16_e32 v62, v60, v61
	;; [unrolled: 1-line block ×4, first 2 shown]
	v_add_f16_e32 v58, v58, v62
	v_sub_f16_e32 v24, v2, v23
	v_sub_f16_e32 v46, v2, v3
	;; [unrolled: 1-line block ×4, first 2 shown]
	v_add_f16_e32 v68, v68, v70
	v_add_f16_e32 v70, v2, v23
	;; [unrolled: 1-line block ×3, first 2 shown]
	v_sub_f16_e32 v47, v23, v9
	v_add_f16_e32 v62, v62, v63
	v_add_f16_e32 v63, v50, v60
	v_add_f16_e32 v2, v2, v3
	v_sub_f16_e32 v25, v3, v9
	v_add_f16_e32 v26, v51, v61
	v_add_f16_e32 v46, v46, v47
	;; [unrolled: 1-line block ×3, first 2 shown]
	v_fma_f16 v63, v63, -0.5, v59
	v_add_f16_e32 v2, v2, v9
	ds_read_u16 v9, v11
	v_fma_f16 v26, v26, -0.5, v59
	v_fma_f16 v64, v25, s3, v63
	v_fma_f16 v63, v25, s0, v63
	;; [unrolled: 1-line block ×3, first 2 shown]
	v_fma_f16 v47, v47, -0.5, v22
	v_sub_f16_e32 v48, v50, v60
	v_fma_f16 v64, v24, s1, v64
	v_fma_f16 v63, v24, s4, v63
	;; [unrolled: 1-line block ×5, first 2 shown]
	v_sub_f16_e32 v57, v51, v61
	v_fma_f16 v24, v25, s4, v24
	v_fma_f16 v25, v48, s0, v47
	;; [unrolled: 1-line block ×4, first 2 shown]
	v_add_f16_e32 v26, v50, v59
	v_fma_f16 v49, v46, s2, v49
	v_fma_f16 v70, v70, -0.5, v22
	v_fma_f16 v25, v46, s2, v25
	v_add_f16_e32 v26, v51, v26
	v_add_f16_e32 v22, v23, v2
	s_waitcnt vmcnt(0)
	v_lshrrev_b32_e32 v2, 16, v32
	v_lshrrev_b32_e32 v3, 16, v33
	;; [unrolled: 1-line block ×4, first 2 shown]
	v_mul_f16_e32 v46, v32, v56
	s_waitcnt lgkmcnt(0)
	v_mul_f16_e32 v47, v33, v9
	v_mul_f16_e32 v50, v35, v65
	v_mul_f16_e32 v51, v34, v69
	v_fma_f16 v64, v62, s2, v64
	v_fma_f16 v72, v57, s0, v70
	;; [unrolled: 1-line block ×10, first 2 shown]
	v_sub_f16_e32 v48, v46, v47
	v_sub_f16_e32 v57, v50, v51
	v_mul_f16_e32 v3, v3, v9
	v_add_f16_e32 v48, v48, v57
	v_fma_f16 v18, v18, v33, -v3
	v_mul_f16_e32 v3, v11, v69
	v_mul_f16_e32 v2, v2, v56
	v_sub_f16_e32 v56, v47, v46
	v_sub_f16_e32 v57, v51, v50
	v_fma_f16 v11, v21, v34, -v3
	v_fma_f16 v9, v19, v32, -v2
	v_mul_f16_e32 v2, v23, v65
	v_add_f16_e32 v56, v56, v57
	v_add_f16_e32 v57, v46, v50
	v_sub_f16_e32 v3, v18, v11
	v_fma_f16 v19, v20, v35, -v2
	v_add_f16_e32 v20, v47, v51
	v_fma_f16 v57, v57, -0.5, v10
	v_fma_f16 v38, v58, s2, v38
	v_fma_f16 v24, v58, s2, v24
	v_sub_f16_e32 v2, v9, v19
	v_fma_f16 v20, v20, -0.5, v10
	v_sub_f16_e32 v23, v9, v18
	v_sub_f16_e32 v32, v19, v11
	v_fma_f16 v58, v3, s3, v57
	v_fma_f16 v57, v3, s0, v57
	v_add_f16_e32 v26, v61, v26
	v_fma_f16 v21, v2, s0, v20
	v_add_f16_e32 v23, v23, v32
	v_add_f16_e32 v32, v18, v11
	v_fma_f16 v58, v2, s1, v58
	v_fma_f16 v57, v2, s4, v57
	;; [unrolled: 1-line block ×3, first 2 shown]
	v_add_f16_e32 v26, v60, v26
	v_fma_f16 v32, v32, -0.5, v17
	v_sub_f16_e32 v33, v46, v50
	v_sub_f16_e32 v59, v18, v9
	;; [unrolled: 1-line block ×3, first 2 shown]
	v_fma_f16 v2, v3, s4, v2
	v_fma_f16 v34, v33, s3, v32
	v_sub_f16_e32 v35, v47, v51
	v_add_f16_e32 v59, v59, v60
	v_add_f16_e32 v60, v9, v19
	v_fma_f16 v20, v48, s2, v2
	v_fma_f16 v2, v33, s0, v32
	;; [unrolled: 1-line block ×3, first 2 shown]
	v_fma_f16 v60, v60, -0.5, v17
	v_fma_f16 v2, v35, s1, v2
	v_fma_f16 v34, v23, s2, v34
	;; [unrolled: 1-line block ×6, first 2 shown]
	v_add_f16_e32 v2, v46, v10
	v_fma_f16 v21, v3, s1, v21
	v_fma_f16 v61, v35, s0, v60
	;; [unrolled: 1-line block ×3, first 2 shown]
	v_add_f16_e32 v10, v47, v2
	v_mad_u64_u32 v[2:3], s[0:1], s12, v4, 0
	v_add_f16_e32 v10, v51, v10
	v_add_f16_e32 v32, v50, v10
	;; [unrolled: 1-line block ×3, first 2 shown]
	v_mad_u64_u32 v[9:10], s[0:1], s13, v4, v[3:4]
	v_add_f16_e32 v3, v17, v18
	v_add_f16_e32 v3, v3, v11
	v_add_u32_e32 v18, 0x118, v4
	v_add_f16_e32 v11, v19, v3
	v_mov_b32_e32 v3, v9
	v_mad_u64_u32 v[9:10], s[0:1], s12, v18, 0
	v_mov_b32_e32 v17, s15
	v_add_co_u32_e32 v19, vcc, s14, v0
	v_addc_co_u32_e32 v17, vcc, v17, v1, vcc
	v_lshlrev_b64 v[0:1], 2, v[2:3]
	v_mov_b32_e32 v2, v10
	v_mad_u64_u32 v[2:3], s[0:1], s13, v18, v[2:3]
	v_add_co_u32_e32 v0, vcc, v19, v0
	v_addc_co_u32_e32 v1, vcc, v17, v1, vcc
	v_pack_b32_f16 v3, v11, v32
	v_mov_b32_e32 v10, v2
	global_store_dword v[0:1], v3, off
	v_lshlrev_b64 v[0:1], 2, v[9:10]
	v_add_u32_e32 v9, 0x230, v4
	v_mad_u64_u32 v[2:3], s[0:1], s12, v9, 0
	v_pack_b32_f16 v18, v23, v20
	v_add_u32_e32 v20, 0x348, v4
	v_mad_u64_u32 v[9:10], s[0:1], s13, v9, v[3:4]
	v_mad_u64_u32 v[10:11], s[0:1], s12, v20, 0
	v_add_co_u32_e32 v0, vcc, v19, v0
	v_addc_co_u32_e32 v1, vcc, v17, v1, vcc
	v_mov_b32_e32 v3, v9
	global_store_dword v[0:1], v18, off
	v_lshlrev_b64 v[0:1], 2, v[2:3]
	v_mov_b32_e32 v2, v11
	v_mad_u64_u32 v[2:3], s[0:1], s13, v20, v[2:3]
	v_fma_f16 v57, v59, s2, v57
	v_add_co_u32_e32 v0, vcc, v19, v0
	v_addc_co_u32_e32 v1, vcc, v17, v1, vcc
	v_pack_b32_f16 v3, v57, v56
	v_add_u32_e32 v9, 0x460, v4
	global_store_dword v[0:1], v3, off
	v_mov_b32_e32 v11, v2
	v_mad_u64_u32 v[2:3], s[0:1], s12, v9, 0
	v_lshlrev_b64 v[0:1], 2, v[10:11]
	v_fma_f16 v61, v33, s4, v61
	v_mad_u64_u32 v[9:10], s[0:1], s13, v9, v[3:4]
	v_fma_f16 v61, v59, s2, v61
	v_add_co_u32_e32 v0, vcc, v19, v0
	v_addc_co_u32_e32 v1, vcc, v17, v1, vcc
	v_pack_b32_f16 v3, v61, v58
	global_store_dword v[0:1], v3, off
	v_mov_b32_e32 v3, v9
	v_fma_f16 v72, v68, s2, v72
	v_fma_f16 v63, v68, s2, v63
	;; [unrolled: 1-line block ×3, first 2 shown]
	v_lshlrev_b64 v[0:1], 2, v[2:3]
	v_mad_u64_u32 v[2:3], s[2:3], s12, v5, 0
	v_add_co_u32_e32 v0, vcc, v19, v0
	v_mad_u64_u32 v[9:10], s[2:3], s13, v5, v[3:4]
	v_add_u32_e32 v5, 0x150, v4
	v_mad_u64_u32 v[10:11], s[2:3], s12, v5, 0
	v_addc_co_u32_e32 v1, vcc, v17, v1, vcc
	v_pack_b32_f16 v18, v34, v21
	v_mov_b32_e32 v3, v9
	global_store_dword v[0:1], v18, off
	v_lshlrev_b64 v[0:1], 2, v[2:3]
	v_mov_b32_e32 v2, v11
	v_mad_u64_u32 v[2:3], s[2:3], s13, v5, v[2:3]
	v_add_co_u32_e32 v0, vcc, v19, v0
	v_addc_co_u32_e32 v1, vcc, v17, v1, vcc
	v_pack_b32_f16 v3, v22, v26
	v_add_u32_e32 v5, 0x268, v4
	global_store_dword v[0:1], v3, off
	v_mov_b32_e32 v11, v2
	v_mad_u64_u32 v[2:3], s[2:3], s12, v5, 0
	v_lshlrev_b64 v[0:1], 2, v[10:11]
	v_pack_b32_f16 v18, v25, v24
	v_mad_u64_u32 v[9:10], s[2:3], s13, v5, v[3:4]
	v_or_b32_e32 v5, 0x380, v4
	v_mad_u64_u32 v[10:11], s[2:3], s12, v5, 0
	v_add_co_u32_e32 v0, vcc, v19, v0
	v_addc_co_u32_e32 v1, vcc, v17, v1, vcc
	v_mov_b32_e32 v3, v9
	global_store_dword v[0:1], v18, off
	v_lshlrev_b64 v[0:1], 2, v[2:3]
	v_mov_b32_e32 v2, v11
	v_mad_u64_u32 v[2:3], s[2:3], s13, v5, v[2:3]
	v_add_co_u32_e32 v0, vcc, v19, v0
	v_addc_co_u32_e32 v1, vcc, v17, v1, vcc
	v_pack_b32_f16 v3, v63, v62
	v_add_u32_e32 v5, 0x498, v4
	global_store_dword v[0:1], v3, off
	v_mov_b32_e32 v11, v2
	v_mad_u64_u32 v[2:3], s[2:3], s12, v5, 0
	v_lshlrev_b64 v[0:1], 2, v[10:11]
	v_pack_b32_f16 v18, v72, v64
	v_mad_u64_u32 v[9:10], s[2:3], s13, v5, v[3:4]
	v_add_u32_e32 v5, 0x70, v4
	v_mad_u64_u32 v[10:11], s[2:3], s12, v5, 0
	v_add_co_u32_e32 v0, vcc, v19, v0
	v_addc_co_u32_e32 v1, vcc, v17, v1, vcc
	v_mov_b32_e32 v3, v9
	global_store_dword v[0:1], v18, off
	v_lshlrev_b64 v[0:1], 2, v[2:3]
	v_mov_b32_e32 v2, v11
	v_mad_u64_u32 v[2:3], s[2:3], s13, v5, v[2:3]
	v_add_co_u32_e32 v0, vcc, v19, v0
	v_addc_co_u32_e32 v1, vcc, v17, v1, vcc
	v_pack_b32_f16 v3, v49, v38
	v_add_u32_e32 v5, 0x188, v4
	global_store_dword v[0:1], v3, off
	v_mov_b32_e32 v11, v2
	v_mad_u64_u32 v[2:3], s[2:3], s12, v5, 0
	v_lshlrev_b64 v[0:1], 2, v[10:11]
	v_pack_b32_f16 v18, v27, v54
	v_mad_u64_u32 v[9:10], s[2:3], s13, v5, v[3:4]
	v_mad_u64_u32 v[10:11], s[2:3], s12, v8, 0
	v_add_co_u32_e32 v0, vcc, v19, v0
	v_addc_co_u32_e32 v1, vcc, v17, v1, vcc
	v_mov_b32_e32 v3, v9
	global_store_dword v[0:1], v18, off
	v_lshlrev_b64 v[0:1], 2, v[2:3]
	v_mov_b32_e32 v2, v11
	v_mad_u64_u32 v[2:3], s[2:3], s13, v8, v[2:3]
	v_add_co_u32_e32 v0, vcc, v19, v0
	v_addc_co_u32_e32 v1, vcc, v17, v1, vcc
	v_pack_b32_f16 v3, v53, v66
	v_add_u32_e32 v5, 0x3b8, v4
	global_store_dword v[0:1], v3, off
	v_mov_b32_e32 v11, v2
	v_mad_u64_u32 v[2:3], s[2:3], s12, v5, 0
	v_lshlrev_b64 v[0:1], 2, v[10:11]
	v_pack_b32_f16 v11, v71, v67
	v_mad_u64_u32 v[8:9], s[2:3], s13, v5, v[3:4]
	v_add_u32_e32 v5, 0x4d0, v4
	v_mad_u64_u32 v[9:10], s[2:3], s12, v5, 0
	v_add_co_u32_e32 v0, vcc, v19, v0
	v_addc_co_u32_e32 v1, vcc, v17, v1, vcc
	v_mov_b32_e32 v3, v8
	global_store_dword v[0:1], v11, off
	v_lshlrev_b64 v[0:1], 2, v[2:3]
	v_mov_b32_e32 v2, v10
	v_mad_u64_u32 v[2:3], s[2:3], s13, v5, v[2:3]
	v_add_co_u32_e32 v0, vcc, v19, v0
	v_addc_co_u32_e32 v1, vcc, v17, v1, vcc
	v_pack_b32_f16 v3, v76, v73
	v_add_u32_e32 v5, 0xa8, v4
	global_store_dword v[0:1], v3, off
	v_mov_b32_e32 v10, v2
	v_mad_u64_u32 v[2:3], s[2:3], s12, v5, 0
	v_lshlrev_b64 v[0:1], 2, v[9:10]
	v_pack_b32_f16 v11, v55, v52
	v_mad_u64_u32 v[8:9], s[2:3], s13, v5, v[3:4]
	v_or_b32_e32 v5, 0x1c0, v4
	v_mad_u64_u32 v[9:10], s[2:3], s12, v5, 0
	v_add_co_u32_e32 v0, vcc, v19, v0
	v_addc_co_u32_e32 v1, vcc, v17, v1, vcc
	v_mov_b32_e32 v3, v8
	global_store_dword v[0:1], v11, off
	v_lshlrev_b64 v[0:1], 2, v[2:3]
	v_mov_b32_e32 v2, v10
	v_mad_u64_u32 v[2:3], s[2:3], s13, v5, v[2:3]
	v_add_co_u32_e32 v0, vcc, v19, v0
	v_addc_co_u32_e32 v1, vcc, v17, v1, vcc
	v_pack_b32_f16 v3, v36, v45
	v_add_u32_e32 v5, 0x2d8, v4
	global_store_dword v[0:1], v3, off
	v_mov_b32_e32 v10, v2
	v_mad_u64_u32 v[2:3], s[2:3], s12, v5, 0
	v_lshlrev_b64 v[0:1], 2, v[9:10]
	v_pack_b32_f16 v11, v44, v43
	v_mad_u64_u32 v[8:9], s[2:3], s13, v5, v[3:4]
	v_add_u32_e32 v5, 0x3f0, v4
	v_mad_u64_u32 v[9:10], s[2:3], s12, v5, 0
	v_add_co_u32_e32 v0, vcc, v19, v0
	v_addc_co_u32_e32 v1, vcc, v17, v1, vcc
	v_mov_b32_e32 v3, v8
	global_store_dword v[0:1], v11, off
	v_lshlrev_b64 v[0:1], 2, v[2:3]
	v_mov_b32_e32 v2, v10
	v_mad_u64_u32 v[2:3], s[2:3], s13, v5, v[2:3]
	v_add_co_u32_e32 v0, vcc, v19, v0
	v_addc_co_u32_e32 v1, vcc, v17, v1, vcc
	v_pack_b32_f16 v3, v42, v41
	v_mov_b32_e32 v10, v2
	global_store_dword v[0:1], v3, off
	v_lshlrev_b64 v[0:1], 2, v[9:10]
	v_add_u32_e32 v5, 0x508, v4
	v_add_u32_e32 v9, 0xe0, v4
	v_mad_u64_u32 v[2:3], s[2:3], s12, v5, 0
	v_lshrrev_b32_e32 v4, 3, v9
	s_mov_b32 s1, 0xea0ea0f
	v_mul_hi_u32 v10, v4, s1
	v_mad_u64_u32 v[3:4], s[2:3], s13, v5, v[3:4]
	s_movk_i32 s0, 0x460
	v_lshrrev_b32_e32 v4, 1, v10
	v_mad_u32_u24 v9, v4, s0, v9
	v_mad_u64_u32 v[4:5], s[0:1], s12, v9, 0
	v_add_co_u32_e32 v0, vcc, v19, v0
	v_addc_co_u32_e32 v1, vcc, v17, v1, vcc
	v_pack_b32_f16 v8, v40, v39
	global_store_dword v[0:1], v8, off
	v_lshlrev_b64 v[0:1], 2, v[2:3]
	v_mov_b32_e32 v2, v5
	v_mad_u64_u32 v[2:3], s[0:1], s13, v9, v[2:3]
	v_add_co_u32_e32 v0, vcc, v19, v0
	v_addc_co_u32_e32 v1, vcc, v17, v1, vcc
	v_pack_b32_f16 v3, v37, v6
	v_mov_b32_e32 v5, v2
	global_store_dword v[0:1], v3, off
	v_lshlrev_b64 v[0:1], 2, v[4:5]
	v_add_u32_e32 v4, 0x118, v9
	v_mad_u64_u32 v[2:3], s[0:1], s12, v4, 0
	v_add_u32_e32 v8, 0x230, v9
	v_add_co_u32_e32 v0, vcc, v19, v0
	v_mad_u64_u32 v[3:4], s[0:1], s13, v4, v[3:4]
	v_mad_u64_u32 v[4:5], s[0:1], s12, v8, 0
	v_addc_co_u32_e32 v1, vcc, v17, v1, vcc
	v_pack_b32_f16 v6, v31, v30
	global_store_dword v[0:1], v6, off
	v_lshlrev_b64 v[0:1], 2, v[2:3]
	v_mov_b32_e32 v2, v5
	v_mad_u64_u32 v[2:3], s[0:1], s13, v8, v[2:3]
	v_add_co_u32_e32 v0, vcc, v19, v0
	v_addc_co_u32_e32 v1, vcc, v17, v1, vcc
	v_pack_b32_f16 v3, v29, v28
	v_mov_b32_e32 v5, v2
	global_store_dword v[0:1], v3, off
	v_lshlrev_b64 v[0:1], 2, v[4:5]
	v_add_u32_e32 v4, 0x348, v9
	v_mad_u64_u32 v[2:3], s[0:1], s12, v4, 0
	v_add_u32_e32 v8, 0x460, v9
	v_add_co_u32_e32 v0, vcc, v19, v0
	v_mad_u64_u32 v[3:4], s[0:1], s13, v4, v[3:4]
	v_mad_u64_u32 v[4:5], s[0:1], s12, v8, 0
	v_addc_co_u32_e32 v1, vcc, v17, v1, vcc
	v_pack_b32_f16 v6, v16, v15
	global_store_dword v[0:1], v6, off
	v_lshlrev_b64 v[0:1], 2, v[2:3]
	v_mov_b32_e32 v2, v5
	v_mad_u64_u32 v[2:3], s[0:1], s13, v8, v[2:3]
	v_add_co_u32_e32 v0, vcc, v19, v0
	v_addc_co_u32_e32 v1, vcc, v17, v1, vcc
	v_pack_b32_f16 v3, v14, v13
	v_mov_b32_e32 v5, v2
	global_store_dword v[0:1], v3, off
	v_lshlrev_b64 v[0:1], 2, v[4:5]
	v_pack_b32_f16 v2, v12, v7
	v_add_co_u32_e32 v0, vcc, v19, v0
	v_addc_co_u32_e32 v1, vcc, v17, v1, vcc
	global_store_dword v[0:1], v2, off
.LBB0_45:
	s_endpgm
	.section	.rodata,"a",@progbits
	.p2align	6, 0x0
	.amdhsa_kernel fft_rtc_fwd_len1400_factors_2_2_2_5_7_5_wgs_56_tpt_56_halfLds_half_ip_CI_sbrr_dirReg
		.amdhsa_group_segment_fixed_size 0
		.amdhsa_private_segment_fixed_size 0
		.amdhsa_kernarg_size 88
		.amdhsa_user_sgpr_count 6
		.amdhsa_user_sgpr_private_segment_buffer 1
		.amdhsa_user_sgpr_dispatch_ptr 0
		.amdhsa_user_sgpr_queue_ptr 0
		.amdhsa_user_sgpr_kernarg_segment_ptr 1
		.amdhsa_user_sgpr_dispatch_id 0
		.amdhsa_user_sgpr_flat_scratch_init 0
		.amdhsa_user_sgpr_private_segment_size 0
		.amdhsa_uses_dynamic_stack 0
		.amdhsa_system_sgpr_private_segment_wavefront_offset 0
		.amdhsa_system_sgpr_workgroup_id_x 1
		.amdhsa_system_sgpr_workgroup_id_y 0
		.amdhsa_system_sgpr_workgroup_id_z 0
		.amdhsa_system_sgpr_workgroup_info 0
		.amdhsa_system_vgpr_workitem_id 0
		.amdhsa_next_free_vgpr 115
		.amdhsa_next_free_sgpr 24
		.amdhsa_reserve_vcc 1
		.amdhsa_reserve_flat_scratch 0
		.amdhsa_float_round_mode_32 0
		.amdhsa_float_round_mode_16_64 0
		.amdhsa_float_denorm_mode_32 3
		.amdhsa_float_denorm_mode_16_64 3
		.amdhsa_dx10_clamp 1
		.amdhsa_ieee_mode 1
		.amdhsa_fp16_overflow 0
		.amdhsa_exception_fp_ieee_invalid_op 0
		.amdhsa_exception_fp_denorm_src 0
		.amdhsa_exception_fp_ieee_div_zero 0
		.amdhsa_exception_fp_ieee_overflow 0
		.amdhsa_exception_fp_ieee_underflow 0
		.amdhsa_exception_fp_ieee_inexact 0
		.amdhsa_exception_int_div_zero 0
	.end_amdhsa_kernel
	.text
.Lfunc_end0:
	.size	fft_rtc_fwd_len1400_factors_2_2_2_5_7_5_wgs_56_tpt_56_halfLds_half_ip_CI_sbrr_dirReg, .Lfunc_end0-fft_rtc_fwd_len1400_factors_2_2_2_5_7_5_wgs_56_tpt_56_halfLds_half_ip_CI_sbrr_dirReg
                                        ; -- End function
	.section	.AMDGPU.csdata,"",@progbits
; Kernel info:
; codeLenInByte = 19704
; NumSgprs: 28
; NumVgprs: 115
; ScratchSize: 0
; MemoryBound: 0
; FloatMode: 240
; IeeeMode: 1
; LDSByteSize: 0 bytes/workgroup (compile time only)
; SGPRBlocks: 3
; VGPRBlocks: 28
; NumSGPRsForWavesPerEU: 28
; NumVGPRsForWavesPerEU: 115
; Occupancy: 2
; WaveLimiterHint : 1
; COMPUTE_PGM_RSRC2:SCRATCH_EN: 0
; COMPUTE_PGM_RSRC2:USER_SGPR: 6
; COMPUTE_PGM_RSRC2:TRAP_HANDLER: 0
; COMPUTE_PGM_RSRC2:TGID_X_EN: 1
; COMPUTE_PGM_RSRC2:TGID_Y_EN: 0
; COMPUTE_PGM_RSRC2:TGID_Z_EN: 0
; COMPUTE_PGM_RSRC2:TIDIG_COMP_CNT: 0
	.type	__hip_cuid_f29c6e22da68d83e,@object ; @__hip_cuid_f29c6e22da68d83e
	.section	.bss,"aw",@nobits
	.globl	__hip_cuid_f29c6e22da68d83e
__hip_cuid_f29c6e22da68d83e:
	.byte	0                               ; 0x0
	.size	__hip_cuid_f29c6e22da68d83e, 1

	.ident	"AMD clang version 19.0.0git (https://github.com/RadeonOpenCompute/llvm-project roc-6.4.0 25133 c7fe45cf4b819c5991fe208aaa96edf142730f1d)"
	.section	".note.GNU-stack","",@progbits
	.addrsig
	.addrsig_sym __hip_cuid_f29c6e22da68d83e
	.amdgpu_metadata
---
amdhsa.kernels:
  - .args:
      - .actual_access:  read_only
        .address_space:  global
        .offset:         0
        .size:           8
        .value_kind:     global_buffer
      - .offset:         8
        .size:           8
        .value_kind:     by_value
      - .actual_access:  read_only
        .address_space:  global
        .offset:         16
        .size:           8
        .value_kind:     global_buffer
      - .actual_access:  read_only
        .address_space:  global
        .offset:         24
        .size:           8
        .value_kind:     global_buffer
      - .offset:         32
        .size:           8
        .value_kind:     by_value
      - .actual_access:  read_only
        .address_space:  global
        .offset:         40
        .size:           8
        .value_kind:     global_buffer
      - .actual_access:  read_only
        .address_space:  global
        .offset:         48
        .size:           8
        .value_kind:     global_buffer
      - .offset:         56
        .size:           4
        .value_kind:     by_value
      - .actual_access:  read_only
        .address_space:  global
        .offset:         64
        .size:           8
        .value_kind:     global_buffer
      - .actual_access:  read_only
        .address_space:  global
        .offset:         72
        .size:           8
        .value_kind:     global_buffer
      - .address_space:  global
        .offset:         80
        .size:           8
        .value_kind:     global_buffer
    .group_segment_fixed_size: 0
    .kernarg_segment_align: 8
    .kernarg_segment_size: 88
    .language:       OpenCL C
    .language_version:
      - 2
      - 0
    .max_flat_workgroup_size: 56
    .name:           fft_rtc_fwd_len1400_factors_2_2_2_5_7_5_wgs_56_tpt_56_halfLds_half_ip_CI_sbrr_dirReg
    .private_segment_fixed_size: 0
    .sgpr_count:     28
    .sgpr_spill_count: 0
    .symbol:         fft_rtc_fwd_len1400_factors_2_2_2_5_7_5_wgs_56_tpt_56_halfLds_half_ip_CI_sbrr_dirReg.kd
    .uniform_work_group_size: 1
    .uses_dynamic_stack: false
    .vgpr_count:     115
    .vgpr_spill_count: 0
    .wavefront_size: 64
amdhsa.target:   amdgcn-amd-amdhsa--gfx906
amdhsa.version:
  - 1
  - 2
...

	.end_amdgpu_metadata
